;; amdgpu-corpus repo=ROCm/rocFFT kind=compiled arch=gfx1100 opt=O3
	.text
	.amdgcn_target "amdgcn-amd-amdhsa--gfx1100"
	.amdhsa_code_object_version 6
	.protected	bluestein_single_back_len1001_dim1_dp_op_CI_CI ; -- Begin function bluestein_single_back_len1001_dim1_dp_op_CI_CI
	.globl	bluestein_single_back_len1001_dim1_dp_op_CI_CI
	.p2align	8
	.type	bluestein_single_back_len1001_dim1_dp_op_CI_CI,@function
bluestein_single_back_len1001_dim1_dp_op_CI_CI: ; @bluestein_single_back_len1001_dim1_dp_op_CI_CI
; %bb.0:
	s_load_b128 s[4:7], s[0:1], 0x28
	v_mul_u32_u24_e32 v1, 0x2d1, v0
	v_mov_b32_e32 v4, 0
	s_mov_b32 s2, exec_lo
	s_delay_alu instid0(VALU_DEP_2) | instskip(NEXT) | instid1(VALU_DEP_1)
	v_lshrrev_b32_e32 v1, 16, v1
	v_lshl_add_u32 v3, s15, 1, v1
	s_delay_alu instid0(VALU_DEP_1)
	v_mov_b32_e32 v2, v3
	scratch_store_b64 off, v[2:3], off      ; 8-byte Folded Spill
	s_waitcnt lgkmcnt(0)
	v_cmpx_gt_u64_e64 s[4:5], v[3:4]
	s_cbranch_execz .LBB0_23
; %bb.1:
	v_mul_lo_u16 v2, 0x5b, v1
	s_clause 0x1
	s_load_b64 s[14:15], s[0:1], 0x0
	s_load_b64 s[12:13], s[0:1], 0x38
	v_and_b32_e32 v1, 1, v1
	v_sub_nc_u16 v0, v0, v2
	s_delay_alu instid0(VALU_DEP_2) | instskip(NEXT) | instid1(VALU_DEP_2)
	v_cmp_eq_u32_e32 vcc_lo, 1, v1
	v_and_b32_e32 v255, 0xffff, v0
	v_cndmask_b32_e64 v168, 0, 0x3e9, vcc_lo
	v_cmp_gt_u16_e32 vcc_lo, 0x4d, v0
	s_delay_alu instid0(VALU_DEP_3)
	v_lshlrev_b32_e32 v0, 4, v255
	scratch_store_b32 off, v0, off offset:28 ; 4-byte Folded Spill
	v_lshlrev_b32_e32 v0, 4, v168
	scratch_store_b32 off, v0, off offset:8 ; 4-byte Folded Spill
	s_and_saveexec_b32 s3, vcc_lo
	s_cbranch_execz .LBB0_3
; %bb.2:
	scratch_load_b64 v[0:1], off, off       ; 8-byte Folded Reload
	s_load_b64 s[4:5], s[0:1], 0x18
	v_lshlrev_b32_e32 v132, 4, v255
	s_waitcnt lgkmcnt(0)
	s_delay_alu instid0(VALU_DEP_1) | instskip(NEXT) | instid1(VALU_DEP_1)
	v_add_co_u32 v19, s2, s14, v132
	v_add_co_ci_u32_e64 v20, null, s15, 0, s2
	s_delay_alu instid0(VALU_DEP_2) | instskip(NEXT) | instid1(VALU_DEP_1)
	v_add_co_u32 v26, s2, 0x1000, v19
	v_add_co_ci_u32_e64 v27, s2, 0, v20, s2
	v_add_co_u32 v36, s2, 0x2000, v19
	s_delay_alu instid0(VALU_DEP_1)
	v_add_co_ci_u32_e64 v37, s2, 0, v20, s2
	v_add_co_u32 v96, s2, 0x3000, v19
	s_load_b128 s[8:11], s[4:5], 0x0
	v_add_co_ci_u32_e64 v97, s2, 0, v20, s2
	s_waitcnt lgkmcnt(0)
	v_mad_u64_u32 v[28:29], null, s8, v255, 0
	s_mul_i32 s4, s9, 0x4d0
	s_mul_hi_u32 s5, s8, 0x4d0
	s_delay_alu instid0(SALU_CYCLE_1)
	s_add_i32 s5, s5, s4
	s_waitcnt vmcnt(0)
	v_mov_b32_e32 v21, v0
	s_clause 0x3
	global_load_b128 v[0:3], v132, s[14:15]
	global_load_b128 v[4:7], v132, s[14:15] offset:1232
	global_load_b128 v[8:11], v132, s[14:15] offset:2464
	;; [unrolled: 1-line block ×3, first 2 shown]
	v_mad_u64_u32 v[24:25], null, s10, v21, 0
	s_delay_alu instid0(VALU_DEP_1) | instskip(NEXT) | instid1(VALU_DEP_1)
	v_mov_b32_e32 v16, v25
	v_mad_u64_u32 v[17:18], null, s11, v21, v[16:17]
	v_mov_b32_e32 v16, v29
	s_delay_alu instid0(VALU_DEP_2) | instskip(NEXT) | instid1(VALU_DEP_2)
	v_mov_b32_e32 v25, v17
	v_mad_u64_u32 v[29:30], null, s9, v255, v[16:17]
	s_clause 0x1
	global_load_b128 v[16:19], v[26:27], off offset:832
	global_load_b128 v[20:23], v[26:27], off offset:2064
	v_lshlrev_b64 v[30:31], 4, v[24:25]
	global_load_b128 v[24:27], v[26:27], off offset:3296
	v_lshlrev_b64 v[28:29], 4, v[28:29]
	v_add_co_u32 v30, s2, s6, v30
	s_delay_alu instid0(VALU_DEP_1) | instskip(SKIP_1) | instid1(VALU_DEP_2)
	v_add_co_ci_u32_e64 v31, s2, s7, v31, s2
	s_mul_i32 s6, s8, 0x4d0
	v_add_co_u32 v40, s2, v30, v28
	s_delay_alu instid0(VALU_DEP_1) | instskip(SKIP_4) | instid1(VALU_DEP_1)
	v_add_co_ci_u32_e64 v41, s2, v31, v29, s2
	s_clause 0x1
	global_load_b128 v[28:31], v[36:37], off offset:432
	global_load_b128 v[32:35], v[36:37], off offset:1664
	v_add_co_u32 v44, s2, v40, s6
	v_add_co_ci_u32_e64 v45, s2, s5, v41, s2
	global_load_b128 v[36:39], v[36:37], off offset:2896
	v_add_co_u32 v48, s2, v44, s6
	s_delay_alu instid0(VALU_DEP_1) | instskip(SKIP_4) | instid1(VALU_DEP_1)
	v_add_co_ci_u32_e64 v49, s2, s5, v45, s2
	s_clause 0x1
	global_load_b128 v[40:43], v[40:41], off
	global_load_b128 v[44:47], v[44:45], off
	v_add_co_u32 v52, s2, v48, s6
	v_add_co_ci_u32_e64 v53, s2, s5, v49, s2
	s_delay_alu instid0(VALU_DEP_2) | instskip(NEXT) | instid1(VALU_DEP_1)
	v_add_co_u32 v56, s2, v52, s6
	v_add_co_ci_u32_e64 v57, s2, s5, v53, s2
	s_clause 0x1
	global_load_b128 v[48:51], v[48:49], off
	global_load_b128 v[52:55], v[52:53], off
	v_add_co_u32 v60, s2, v56, s6
	s_delay_alu instid0(VALU_DEP_1) | instskip(SKIP_2) | instid1(VALU_DEP_1)
	v_add_co_ci_u32_e64 v61, s2, s5, v57, s2
	global_load_b128 v[56:59], v[56:57], off
	v_add_co_u32 v64, s2, v60, s6
	v_add_co_ci_u32_e64 v65, s2, s5, v61, s2
	global_load_b128 v[60:63], v[60:61], off
	v_add_co_u32 v68, s2, v64, s6
	s_delay_alu instid0(VALU_DEP_1) | instskip(SKIP_2) | instid1(VALU_DEP_1)
	v_add_co_ci_u32_e64 v69, s2, s5, v65, s2
	global_load_b128 v[64:67], v[64:65], off
	v_add_co_u32 v72, s2, v68, s6
	v_add_co_ci_u32_e64 v73, s2, s5, v69, s2
	global_load_b128 v[68:71], v[68:69], off
	v_add_co_u32 v76, s2, v72, s6
	s_delay_alu instid0(VALU_DEP_1) | instskip(SKIP_2) | instid1(VALU_DEP_1)
	v_add_co_ci_u32_e64 v77, s2, s5, v73, s2
	global_load_b128 v[72:75], v[72:73], off
	v_add_co_u32 v80, s2, v76, s6
	v_add_co_ci_u32_e64 v81, s2, s5, v77, s2
	global_load_b128 v[76:79], v[76:77], off
	v_add_co_u32 v92, s2, v80, s6
	s_delay_alu instid0(VALU_DEP_1) | instskip(SKIP_2) | instid1(VALU_DEP_1)
	v_add_co_ci_u32_e64 v93, s2, s5, v81, s2
	global_load_b128 v[80:83], v[80:81], off
	v_add_co_u32 v100, s2, v92, s6
	v_add_co_ci_u32_e64 v101, s2, s5, v93, s2
	s_clause 0x1
	global_load_b128 v[84:87], v[96:97], off offset:32
	global_load_b128 v[88:91], v[96:97], off offset:1264
	global_load_b128 v[92:95], v[92:93], off
	global_load_b128 v[96:99], v[96:97], off offset:2496
	global_load_b128 v[100:103], v[100:101], off
	s_waitcnt vmcnt(15)
	v_mul_f64 v[104:105], v[42:43], v[2:3]
	v_mul_f64 v[2:3], v[40:41], v[2:3]
	s_waitcnt vmcnt(14)
	v_mul_f64 v[106:107], v[46:47], v[6:7]
	v_mul_f64 v[6:7], v[44:45], v[6:7]
	;; [unrolled: 3-line block ×10, first 2 shown]
	v_fma_f64 v[38:39], v[40:41], v[0:1], v[104:105]
	v_fma_f64 v[40:41], v[42:43], v[0:1], -v[2:3]
	v_fma_f64 v[0:1], v[44:45], v[4:5], v[106:107]
	v_fma_f64 v[2:3], v[46:47], v[4:5], -v[6:7]
	s_waitcnt vmcnt(4)
	v_mul_f64 v[126:127], v[82:83], v[86:87]
	v_mul_f64 v[86:87], v[80:81], v[86:87]
	s_waitcnt vmcnt(2)
	v_mul_f64 v[128:129], v[94:95], v[90:91]
	v_mul_f64 v[90:91], v[92:93], v[90:91]
	;; [unrolled: 3-line block ×3, first 2 shown]
	v_fma_f64 v[4:5], v[48:49], v[8:9], v[108:109]
	v_fma_f64 v[6:7], v[50:51], v[8:9], -v[10:11]
	v_fma_f64 v[8:9], v[52:53], v[12:13], v[110:111]
	v_fma_f64 v[10:11], v[54:55], v[12:13], -v[14:15]
	;; [unrolled: 2-line block ×8, first 2 shown]
	v_lshlrev_b32_e32 v37, 4, v168
	v_fma_f64 v[42:43], v[80:81], v[84:85], v[126:127]
	v_fma_f64 v[44:45], v[82:83], v[84:85], -v[86:87]
	v_fma_f64 v[46:47], v[92:93], v[88:89], v[128:129]
	v_fma_f64 v[48:49], v[94:95], v[88:89], -v[90:91]
	;; [unrolled: 2-line block ×3, first 2 shown]
	v_lshl_add_u32 v36, v255, 4, v37
	v_add_nc_u32_e32 v37, v37, v132
	ds_store_b128 v36, v[38:41]
	ds_store_b128 v37, v[0:3] offset:1232
	ds_store_b128 v37, v[4:7] offset:2464
	;; [unrolled: 1-line block ×12, first 2 shown]
.LBB0_3:
	s_or_b32 exec_lo, exec_lo, s3
	s_waitcnt lgkmcnt(0)
	s_waitcnt_vscnt null, 0x0
	s_barrier
	buffer_gl0_inv
                                        ; implicit-def: $vgpr0_vgpr1
                                        ; implicit-def: $vgpr28_vgpr29
                                        ; implicit-def: $vgpr32_vgpr33
                                        ; implicit-def: $vgpr40_vgpr41
                                        ; implicit-def: $vgpr44_vgpr45
                                        ; implicit-def: $vgpr72_vgpr73
                                        ; implicit-def: $vgpr36_vgpr37
                                        ; implicit-def: $vgpr24_vgpr25
                                        ; implicit-def: $vgpr20_vgpr21
                                        ; implicit-def: $vgpr16_vgpr17
                                        ; implicit-def: $vgpr12_vgpr13
                                        ; implicit-def: $vgpr8_vgpr9
                                        ; implicit-def: $vgpr4_vgpr5
	s_and_saveexec_b32 s2, vcc_lo
	s_cbranch_execz .LBB0_5
; %bb.4:
	v_lshlrev_b32_e32 v0, 4, v255
	s_delay_alu instid0(VALU_DEP_1)
	v_lshl_add_u32 v4, v168, 4, v0
	ds_load_b128 v[0:3], v4
	ds_load_b128 v[28:31], v4 offset:1232
	ds_load_b128 v[32:35], v4 offset:2464
	;; [unrolled: 1-line block ×12, first 2 shown]
.LBB0_5:
	s_or_b32 exec_lo, exec_lo, s2
	s_waitcnt lgkmcnt(0)
	v_add_f64 v[50:51], v[30:31], -v[6:7]
	v_add_f64 v[48:49], v[28:29], -v[4:5]
	s_mov_b32 s22, 0x42a4c3d2
	s_mov_b32 s3, 0xbfddbe06
	;; [unrolled: 1-line block ×4, first 2 shown]
	v_add_f64 v[84:85], v[28:29], v[4:5]
	v_add_f64 v[86:87], v[30:31], v[6:7]
	v_add_f64 v[66:67], v[34:35], -v[10:11]
	v_add_f64 v[64:65], v[32:33], -v[8:9]
	s_mov_b32 s8, 0xe00740e9
	s_mov_b32 s6, 0x1ea71119
	;; [unrolled: 1-line block ×8, first 2 shown]
	v_add_f64 v[76:77], v[32:33], v[8:9]
	v_add_f64 v[78:79], v[34:35], v[10:11]
	v_add_f64 v[68:69], v[42:43], -v[14:15]
	v_add_f64 v[70:71], v[40:41], -v[12:13]
	s_mov_b32 s16, 0xebaa3ed8
	s_mov_b32 s10, 0xb2365da1
	;; [unrolled: 1-line block ×6, first 2 shown]
	v_add_f64 v[88:89], v[40:41], v[12:13]
	v_add_f64 v[90:91], v[42:43], v[14:15]
	v_add_f64 v[233:234], v[44:45], -v[16:17]
	v_add_f64 v[229:230], v[46:47], -v[18:19]
	s_mov_b32 s26, 0x24c2f84
	s_mov_b32 s18, 0x93053d00
	;; [unrolled: 1-line block ×6, first 2 shown]
	v_mul_f64 v[100:101], v[50:51], s[2:3]
	v_mul_f64 v[102:103], v[48:49], s[2:3]
	;; [unrolled: 1-line block ×14, first 2 shown]
	s_mov_b32 s30, s4
	s_mov_b32 s20, s26
	v_add_f64 v[96:97], v[44:45], v[16:17]
	v_add_f64 v[98:99], v[46:47], v[18:19]
	v_add_f64 v[239:240], v[74:75], -v[22:23]
	v_mul_f64 v[191:192], v[50:51], s[26:27]
	v_mul_f64 v[80:81], v[68:69], s[28:29]
	;; [unrolled: 1-line block ×10, first 2 shown]
	s_mov_b32 s31, 0x3fefc445
	v_mul_f64 v[136:137], v[233:234], s[20:21]
	v_mul_f64 v[112:113], v[229:230], s[4:5]
	;; [unrolled: 1-line block ×3, first 2 shown]
	s_mov_b32 s20, 0xd0032e0c
	s_mov_b32 s21, 0xbfe7f3cc
	;; [unrolled: 1-line block ×4, first 2 shown]
	v_add_f64 v[237:238], v[72:73], -v[20:21]
	v_fma_f64 v[52:53], v[84:85], s[8:9], v[100:101]
	v_fma_f64 v[54:55], v[86:87], s[8:9], -v[102:103]
	v_fma_f64 v[56:57], v[84:85], s[6:7], v[104:105]
	v_fma_f64 v[58:59], v[86:87], s[6:7], -v[106:107]
	;; [unrolled: 2-line block ×4, first 2 shown]
	s_clause 0x1
	scratch_store_b64 off, v[60:61], off offset:12
	scratch_store_b64 off, v[62:63], off offset:32
	v_fma_f64 v[60:61], v[76:77], s[6:7], v[60:61]
	v_fma_f64 v[62:63], v[78:79], s[6:7], -v[62:63]
	v_fma_f64 v[144:145], v[76:77], s[10:11], v[108:109]
	v_fma_f64 v[146:147], v[78:79], s[10:11], -v[110:111]
	v_mul_f64 v[114:115], v[233:234], s[4:5]
	v_add_f64 v[245:246], v[38:39], -v[26:27]
	v_mul_f64 v[160:161], v[66:67], s[30:31]
	v_mul_f64 v[175:176], v[229:230], s[2:3]
	;; [unrolled: 1-line block ×4, first 2 shown]
	scratch_store_b64 off, v[80:81], off offset:40 ; 8-byte Folded Spill
	v_fma_f64 v[148:149], v[88:89], s[16:17], v[80:81]
	v_fma_f64 v[158:159], v[88:89], s[18:19], v[124:125]
	v_fma_f64 v[164:165], v[90:91], s[18:19], -v[126:127]
	v_fma_f64 v[152:153], v[90:91], s[16:17], -v[94:95]
	v_fma_f64 v[193:194], v[88:89], s[10:11], v[128:129]
	v_fma_f64 v[207:208], v[84:85], s[20:21], v[191:192]
	v_mul_f64 v[171:172], v[70:71], s[2:3]
	v_fma_f64 v[209:210], v[86:87], s[20:21], -v[201:202]
	v_fma_f64 v[211:212], v[76:77], s[20:21], v[150:151]
	v_fma_f64 v[199:200], v[98:99], s[20:21], -v[136:137]
	v_fma_f64 v[183:184], v[96:97], s[10:11], v[112:113]
	v_fma_f64 v[197:198], v[96:97], s[20:21], v[132:133]
	v_fma_f64 v[215:216], v[78:79], s[20:21], -v[156:157]
	v_add_f64 v[241:242], v[36:37], -v[24:25]
	v_mul_f64 v[177:178], v[233:234], s[2:3]
	v_fma_f64 v[195:196], v[90:91], s[10:11], -v[130:131]
	v_mul_f64 v[173:174], v[237:238], s[30:31]
	v_add_f64 v[52:53], v[0:1], v[52:53]
	v_add_f64 v[54:55], v[2:3], v[54:55]
	;; [unrolled: 1-line block ×7, first 2 shown]
	v_mul_f64 v[142:143], v[239:240], s[26:27]
	v_add_f64 v[213:214], v[0:1], v[179:180]
	v_add_f64 v[217:218], v[2:3], v[181:182]
	v_mul_f64 v[179:180], v[229:230], s[28:29]
	v_mul_f64 v[181:182], v[233:234], s[28:29]
	;; [unrolled: 1-line block ×3, first 2 shown]
	s_mov_b32 s29, 0x3fcea1e5
	v_fma_f64 v[185:186], v[98:99], s[10:11], -v[114:115]
	v_mul_f64 v[203:204], v[245:246], s[2:3]
	s_mov_b32 s28, s24
	v_fma_f64 v[225:226], v[96:97], s[8:9], v[175:176]
	v_mul_f64 v[189:190], v[237:238], s[22:23]
	v_fma_f64 v[243:244], v[88:89], s[8:9], v[166:167]
	v_add_f64 v[231:232], v[0:1], v[207:208]
	v_mul_f64 v[207:208], v[245:246], s[26:27]
	v_add_f64 v[209:210], v[2:3], v[209:210]
	v_mul_f64 v[205:206], v[241:242], s[2:3]
	v_fma_f64 v[227:228], v[98:99], s[8:9], -v[177:178]
	v_add_f64 v[52:53], v[60:61], v[52:53]
	v_add_f64 v[54:55], v[62:63], v[54:55]
	v_fma_f64 v[60:61], v[76:77], s[18:19], v[116:117]
	v_fma_f64 v[62:63], v[78:79], s[18:19], -v[118:119]
	v_add_f64 v[56:57], v[144:145], v[56:57]
	v_add_f64 v[58:59], v[146:147], v[58:59]
	;; [unrolled: 1-line block ×3, first 2 shown]
	v_mul_f64 v[146:147], v[237:238], s[26:27]
	v_fma_f64 v[219:220], v[140:141], s[20:21], v[142:143]
	v_fma_f64 v[223:224], v[140:141], s[16:17], v[169:170]
	v_add_f64 v[211:212], v[211:212], v[213:214]
	v_fma_f64 v[213:214], v[90:91], s[8:9], -v[171:172]
	v_add_f64 v[217:218], v[215:216], v[217:218]
	v_fma_f64 v[82:83], v[98:99], s[16:17], -v[181:182]
	v_mul_f64 v[215:216], v[241:242], s[26:27]
	v_add_f64 v[52:53], v[148:149], v[52:53]
	v_add_f64 v[54:55], v[152:153], v[54:55]
	;; [unrolled: 1-line block ×6, first 2 shown]
	v_mul_f64 v[162:163], v[64:65], s[30:31]
	v_add_f64 v[148:149], v[36:37], v[24:25]
	v_mul_f64 v[152:153], v[245:246], s[24:25]
	v_mul_f64 v[164:165], v[68:69], s[22:23]
	v_add_f64 v[154:155], v[38:39], v[26:27]
	v_mul_f64 v[158:159], v[241:242], s[24:25]
	v_fma_f64 v[221:222], v[144:145], s[20:21], -v[146:147]
	v_add_f64 v[243:244], v[243:244], v[211:212]
	v_add_f64 v[92:93], v[213:214], v[217:218]
	v_mul_f64 v[211:212], v[237:238], s[2:3]
	v_add_f64 v[52:53], v[183:184], v[52:53]
	v_add_f64 v[54:55], v[185:186], v[54:55]
	;; [unrolled: 1-line block ×6, first 2 shown]
	v_fma_f64 v[199:200], v[76:77], s[16:17], v[160:161]
	v_fma_f64 v[235:236], v[78:79], s[16:17], -v[162:163]
	v_fma_f64 v[195:196], v[144:145], s[16:17], -v[173:174]
	v_mul_f64 v[183:184], v[70:71], s[22:23]
	v_mul_f64 v[193:194], v[239:240], s[28:29]
	;; [unrolled: 1-line block ×4, first 2 shown]
	v_fma_f64 v[247:248], v[148:149], s[18:19], v[152:153]
	v_fma_f64 v[251:252], v[148:149], s[8:9], v[203:204]
	s_mov_b32 s23, 0x3fea55e2
	v_fma_f64 v[249:250], v[154:155], s[18:19], -v[158:159]
	v_mul_f64 v[213:214], v[245:246], s[22:23]
	v_add_f64 v[82:83], v[82:83], v[92:93]
	v_fma_f64 v[253:254], v[154:155], s[8:9], -v[205:206]
	v_mul_f64 v[217:218], v[241:242], s[22:23]
	v_mul_f64 v[229:230], v[229:230], s[22:23]
	v_add_f64 v[52:53], v[219:220], v[52:53]
	v_fma_f64 v[219:220], v[140:141], s[6:7], v[187:188]
	v_add_f64 v[225:226], v[225:226], v[60:61]
	v_add_f64 v[54:55], v[221:222], v[54:55]
	;; [unrolled: 1-line block ×3, first 2 shown]
	v_fma_f64 v[223:224], v[88:89], s[6:7], v[164:165]
	v_add_f64 v[231:232], v[199:200], v[231:232]
	v_add_f64 v[209:210], v[235:236], v[209:210]
	v_fma_f64 v[235:236], v[96:97], s[16:17], v[179:180]
	v_fma_f64 v[221:222], v[144:145], s[6:7], -v[189:190]
	v_add_f64 v[227:228], v[227:228], v[62:63]
	v_add_f64 v[58:59], v[195:196], v[58:59]
	v_mul_f64 v[195:196], v[233:234], s[28:29]
	v_fma_f64 v[80:81], v[90:91], s[6:7], -v[183:184]
	v_mul_f64 v[199:200], v[239:240], s[2:3]
	v_add_f64 v[60:61], v[247:248], v[52:53]
	v_fma_f64 v[247:248], v[96:97], s[18:19], v[185:186]
	v_add_f64 v[219:220], v[219:220], v[225:226]
	v_fma_f64 v[225:226], v[148:149], s[20:21], v[207:208]
	;; [unrolled: 2-line block ×3, first 2 shown]
	v_add_f64 v[223:224], v[223:224], v[231:232]
	v_add_f64 v[62:63], v[249:250], v[54:55]
	;; [unrolled: 1-line block ×3, first 2 shown]
	v_fma_f64 v[243:244], v[144:145], s[18:19], -v[197:198]
	v_add_f64 v[221:222], v[221:222], v[227:228]
	v_fma_f64 v[227:228], v[154:155], s[20:21], -v[215:216]
	v_fma_f64 v[249:250], v[98:99], s[18:19], -v[195:196]
	v_add_f64 v[80:81], v[80:81], v[209:210]
	v_mul_f64 v[209:210], v[245:246], s[4:5]
	v_mul_f64 v[231:232], v[50:51], s[24:25]
	v_fma_f64 v[50:51], v[148:149], s[6:7], v[213:214]
	v_add_f64 v[54:55], v[253:254], v[58:59]
	v_add_f64 v[56:57], v[225:226], v[219:220]
	v_fma_f64 v[225:226], v[140:141], s[8:9], v[199:200]
	v_mul_f64 v[219:220], v[241:242], s[4:5]
	v_add_f64 v[92:93], v[247:248], v[223:224]
	v_fma_f64 v[247:248], v[154:155], s[6:7], -v[217:218]
	v_add_f64 v[235:236], v[251:252], v[235:236]
	v_add_f64 v[82:83], v[243:244], v[82:83]
	v_mul_f64 v[243:244], v[48:49], s[24:25]
	v_add_f64 v[58:59], v[227:228], v[221:222]
	v_fma_f64 v[227:228], v[144:145], s[8:9], -v[211:212]
	v_add_f64 v[80:81], v[249:250], v[80:81]
	v_mul_f64 v[221:222], v[66:67], s[2:3]
	v_mul_f64 v[223:224], v[64:65], s[2:3]
	v_fma_f64 v[48:49], v[148:149], s[10:11], v[209:210]
	v_fma_f64 v[249:250], v[84:85], s[18:19], v[231:232]
	v_mul_f64 v[241:242], v[241:242], s[30:31]
	v_fma_f64 v[251:252], v[154:155], s[10:11], -v[219:220]
	v_add_f64 v[92:93], v[225:226], v[92:93]
	v_mul_f64 v[225:226], v[68:69], s[26:27]
	v_add_f64 v[64:65], v[50:51], v[235:236]
	v_add_f64 v[66:67], v[247:248], v[82:83]
	v_fma_f64 v[50:51], v[86:87], s[18:19], -v[243:244]
	v_mul_f64 v[235:236], v[233:234], s[22:23]
	v_mul_f64 v[233:234], v[239:240], s[4:5]
	v_add_f64 v[80:81], v[227:228], v[80:81]
	v_mul_f64 v[227:228], v[70:71], s[26:27]
	v_fma_f64 v[82:83], v[76:77], s[8:9], v[221:222]
	v_mul_f64 v[239:240], v[237:238], s[4:5]
	v_add_f64 v[247:248], v[0:1], v[249:250]
	v_mul_f64 v[237:238], v[245:246], s[30:31]
	s_clause 0x1
	s_load_b64 s[4:5], s[0:1], 0x20
	s_load_b64 s[2:3], s[0:1], 0x8
	v_add_f64 v[68:69], v[48:49], v[92:93]
	v_fma_f64 v[48:49], v[78:79], s[8:9], -v[223:224]
	v_add_f64 v[50:51], v[2:3], v[50:51]
	v_add_f64 v[70:71], v[251:252], v[80:81]
	v_fma_f64 v[80:81], v[88:89], s[20:21], v[225:226]
	v_fma_f64 v[92:93], v[90:91], s[20:21], -v[227:228]
	v_add_f64 v[82:83], v[82:83], v[247:248]
	v_add_f64 v[48:49], v[48:49], v[50:51]
	v_fma_f64 v[50:51], v[96:97], s[6:7], v[229:230]
	s_delay_alu instid0(VALU_DEP_3) | instskip(SKIP_1) | instid1(VALU_DEP_4)
	v_add_f64 v[80:81], v[80:81], v[82:83]
	v_fma_f64 v[82:83], v[98:99], s[6:7], -v[235:236]
	v_add_f64 v[48:49], v[92:93], v[48:49]
	v_fma_f64 v[92:93], v[140:141], s[10:11], v[233:234]
	s_delay_alu instid0(VALU_DEP_4) | instskip(SKIP_1) | instid1(VALU_DEP_4)
	v_add_f64 v[50:51], v[50:51], v[80:81]
	v_fma_f64 v[80:81], v[144:145], s[10:11], -v[239:240]
	v_add_f64 v[48:49], v[82:83], v[48:49]
	v_fma_f64 v[82:83], v[148:149], s[16:17], v[237:238]
	s_delay_alu instid0(VALU_DEP_4) | instskip(SKIP_1) | instid1(VALU_DEP_4)
	v_add_f64 v[50:51], v[92:93], v[50:51]
	v_fma_f64 v[92:93], v[154:155], s[16:17], -v[241:242]
	v_add_f64 v[80:81], v[80:81], v[48:49]
	s_delay_alu instid0(VALU_DEP_3) | instskip(NEXT) | instid1(VALU_DEP_2)
	v_add_f64 v[48:49], v[82:83], v[50:51]
	v_add_f64 v[50:51], v[92:93], v[80:81]
	v_mul_lo_u16 v80, v255, 13
	scratch_store_b32 off, v80, off offset:52 ; 4-byte Folded Spill
	s_waitcnt lgkmcnt(0)
	s_waitcnt_vscnt null, 0x0
	s_barrier
	buffer_gl0_inv
	s_and_saveexec_b32 s0, vcc_lo
	s_cbranch_execz .LBB0_7
; %bb.6:
	v_add_f64 v[30:31], v[2:3], v[30:31]
	v_add_f64 v[28:29], v[0:1], v[28:29]
	s_delay_alu instid0(VALU_DEP_2) | instskip(NEXT) | instid1(VALU_DEP_2)
	v_add_f64 v[30:31], v[30:31], v[34:35]
	v_add_f64 v[28:29], v[28:29], v[32:33]
	s_delay_alu instid0(VALU_DEP_2) | instskip(NEXT) | instid1(VALU_DEP_2)
	v_add_f64 v[30:31], v[30:31], v[42:43]
	v_add_f64 v[28:29], v[28:29], v[40:41]
	v_mul_f64 v[40:41], v[144:145], s[10:11]
	s_delay_alu instid0(VALU_DEP_3) | instskip(NEXT) | instid1(VALU_DEP_3)
	v_add_f64 v[30:31], v[30:31], v[46:47]
	v_add_f64 v[28:29], v[28:29], v[44:45]
	s_delay_alu instid0(VALU_DEP_3) | instskip(NEXT) | instid1(VALU_DEP_3)
	v_add_f64 v[40:41], v[239:240], v[40:41]
	v_add_f64 v[30:31], v[30:31], v[74:75]
	s_delay_alu instid0(VALU_DEP_3) | instskip(NEXT) | instid1(VALU_DEP_2)
	v_add_f64 v[28:29], v[28:29], v[72:73]
	v_add_f64 v[30:31], v[30:31], v[38:39]
	s_delay_alu instid0(VALU_DEP_2) | instskip(SKIP_2) | instid1(VALU_DEP_4)
	v_add_f64 v[28:29], v[28:29], v[36:37]
	v_mul_f64 v[36:37], v[98:99], s[6:7]
	v_mul_f64 v[38:39], v[96:97], s[6:7]
	v_add_f64 v[26:27], v[30:31], v[26:27]
	s_delay_alu instid0(VALU_DEP_4)
	v_add_f64 v[24:25], v[28:29], v[24:25]
	v_mul_f64 v[28:29], v[86:87], s[8:9]
	v_mul_f64 v[30:31], v[84:85], s[8:9]
	v_add_f64 v[36:37], v[235:236], v[36:37]
	v_add_f64 v[38:39], v[38:39], -v[229:230]
	v_add_f64 v[22:23], v[26:27], v[22:23]
	v_add_f64 v[20:21], v[24:25], v[20:21]
	v_mul_f64 v[24:25], v[84:85], s[6:7]
	v_mul_f64 v[26:27], v[84:85], s[20:21]
	v_add_f64 v[28:29], v[102:103], v[28:29]
	v_add_f64 v[30:31], v[30:31], -v[100:101]
	v_add_f64 v[18:19], v[22:23], v[18:19]
	v_add_f64 v[16:17], v[20:21], v[16:17]
	v_mul_f64 v[20:21], v[84:85], s[16:17]
	v_mul_f64 v[22:23], v[86:87], s[6:7]
	v_add_f64 v[24:25], v[24:25], -v[104:105]
	v_add_f64 v[26:27], v[26:27], -v[191:192]
	v_add_f64 v[14:15], v[18:19], v[14:15]
	v_add_f64 v[12:13], v[16:17], v[12:13]
	v_mul_f64 v[16:17], v[84:85], s[10:11]
	v_mul_f64 v[18:19], v[86:87], s[16:17]
	v_add_f64 v[20:21], v[20:21], -v[120:121]
	v_add_f64 v[22:23], v[106:107], v[22:23]
	v_add_f64 v[10:11], v[14:15], v[10:11]
	;; [unrolled: 1-line block ×3, first 2 shown]
	v_mul_f64 v[12:13], v[86:87], s[20:21]
	v_mul_f64 v[14:15], v[86:87], s[10:11]
	v_add_f64 v[16:17], v[16:17], -v[134:135]
	v_add_f64 v[18:19], v[122:123], v[18:19]
	v_add_f64 v[20:21], v[0:1], v[20:21]
	;; [unrolled: 1-line block ×4, first 2 shown]
	v_mul_f64 v[8:9], v[86:87], s[18:19]
	v_mul_f64 v[10:11], v[84:85], s[18:19]
	v_add_f64 v[12:13], v[201:202], v[12:13]
	v_add_f64 v[14:15], v[138:139], v[14:15]
	;; [unrolled: 1-line block ×4, first 2 shown]
	v_add_f64 v[10:11], v[10:11], -v[231:232]
	v_add_f64 v[32:33], v[2:3], v[12:13]
	v_add_f64 v[34:35], v[2:3], v[14:15]
	;; [unrolled: 1-line block ×8, first 2 shown]
	v_mul_f64 v[28:29], v[90:91], s[20:21]
	v_mul_f64 v[30:31], v[88:89], s[20:21]
	v_add_f64 v[8:9], v[2:3], v[8:9]
	v_add_f64 v[10:11], v[0:1], v[10:11]
	v_mul_f64 v[0:1], v[78:79], s[8:9]
	v_mul_f64 v[2:3], v[76:77], s[8:9]
	v_add_f64 v[28:29], v[227:228], v[28:29]
	v_add_f64 v[30:31], v[30:31], -v[225:226]
	s_delay_alu instid0(VALU_DEP_4) | instskip(NEXT) | instid1(VALU_DEP_4)
	v_add_f64 v[0:1], v[223:224], v[0:1]
	v_add_f64 v[2:3], v[2:3], -v[221:222]
	s_delay_alu instid0(VALU_DEP_2) | instskip(NEXT) | instid1(VALU_DEP_2)
	v_add_f64 v[0:1], v[0:1], v[8:9]
	v_add_f64 v[2:3], v[2:3], v[10:11]
	v_mul_f64 v[8:9], v[140:141], s[10:11]
	v_mul_f64 v[10:11], v[154:155], s[16:17]
	s_delay_alu instid0(VALU_DEP_4) | instskip(NEXT) | instid1(VALU_DEP_4)
	v_add_f64 v[0:1], v[28:29], v[0:1]
	v_add_f64 v[2:3], v[30:31], v[2:3]
	s_delay_alu instid0(VALU_DEP_4)
	v_add_f64 v[8:9], v[8:9], -v[233:234]
	v_mul_f64 v[28:29], v[148:149], s[16:17]
	v_add_f64 v[10:11], v[241:242], v[10:11]
	v_mul_f64 v[30:31], v[88:89], s[18:19]
	v_add_f64 v[0:1], v[36:37], v[0:1]
	v_add_f64 v[2:3], v[38:39], v[2:3]
	v_mul_f64 v[36:37], v[98:99], s[20:21]
	v_add_f64 v[28:29], v[28:29], -v[237:238]
	v_mul_f64 v[38:39], v[96:97], s[20:21]
	v_add_f64 v[30:31], v[30:31], -v[124:125]
	v_add_f64 v[0:1], v[40:41], v[0:1]
	v_add_f64 v[8:9], v[8:9], v[2:3]
	v_add_f64 v[36:37], v[136:137], v[36:37]
	v_mul_f64 v[40:41], v[144:145], s[16:17]
	v_add_f64 v[38:39], v[38:39], -v[132:133]
	v_add_f64 v[2:3], v[10:11], v[0:1]
	v_add_f64 v[0:1], v[28:29], v[8:9]
	v_mul_f64 v[8:9], v[78:79], s[10:11]
	v_mul_f64 v[10:11], v[76:77], s[10:11]
	v_mul_f64 v[28:29], v[90:91], s[18:19]
	v_add_f64 v[40:41], v[173:174], v[40:41]
	s_delay_alu instid0(VALU_DEP_4) | instskip(NEXT) | instid1(VALU_DEP_4)
	v_add_f64 v[8:9], v[110:111], v[8:9]
	v_add_f64 v[10:11], v[10:11], -v[108:109]
	s_delay_alu instid0(VALU_DEP_4) | instskip(NEXT) | instid1(VALU_DEP_3)
	v_add_f64 v[28:29], v[126:127], v[28:29]
	v_add_f64 v[8:9], v[8:9], v[14:15]
	s_delay_alu instid0(VALU_DEP_3) | instskip(SKIP_2) | instid1(VALU_DEP_4)
	v_add_f64 v[10:11], v[10:11], v[18:19]
	v_mul_f64 v[14:15], v[140:141], s[16:17]
	v_mul_f64 v[18:19], v[154:155], s[8:9]
	v_add_f64 v[8:9], v[28:29], v[8:9]
	s_delay_alu instid0(VALU_DEP_4) | instskip(NEXT) | instid1(VALU_DEP_4)
	v_add_f64 v[10:11], v[30:31], v[10:11]
	v_add_f64 v[14:15], v[14:15], -v[169:170]
	v_mul_f64 v[28:29], v[148:149], s[8:9]
	v_add_f64 v[18:19], v[205:206], v[18:19]
	v_mul_f64 v[30:31], v[88:89], s[10:11]
	v_add_f64 v[8:9], v[36:37], v[8:9]
	v_add_f64 v[10:11], v[38:39], v[10:11]
	v_mul_f64 v[36:37], v[98:99], s[8:9]
	v_add_f64 v[28:29], v[28:29], -v[203:204]
	v_mul_f64 v[38:39], v[96:97], s[8:9]
	v_add_f64 v[30:31], v[30:31], -v[128:129]
	v_add_f64 v[8:9], v[40:41], v[8:9]
	v_add_f64 v[14:15], v[14:15], v[10:11]
	v_add_f64 v[36:37], v[177:178], v[36:37]
	v_mul_f64 v[40:41], v[144:145], s[6:7]
	v_add_f64 v[38:39], v[38:39], -v[175:176]
	v_add_f64 v[10:11], v[18:19], v[8:9]
	v_add_f64 v[8:9], v[28:29], v[14:15]
	v_mul_f64 v[14:15], v[78:79], s[18:19]
	v_mul_f64 v[18:19], v[76:77], s[18:19]
	v_mul_f64 v[28:29], v[90:91], s[10:11]
	v_add_f64 v[40:41], v[189:190], v[40:41]
	s_delay_alu instid0(VALU_DEP_4) | instskip(NEXT) | instid1(VALU_DEP_4)
	v_add_f64 v[14:15], v[118:119], v[14:15]
	v_add_f64 v[18:19], v[18:19], -v[116:117]
	s_delay_alu instid0(VALU_DEP_4) | instskip(NEXT) | instid1(VALU_DEP_3)
	v_add_f64 v[28:29], v[130:131], v[28:29]
	v_add_f64 v[12:13], v[14:15], v[12:13]
	s_delay_alu instid0(VALU_DEP_3) | instskip(SKIP_2) | instid1(VALU_DEP_4)
	v_add_f64 v[14:15], v[18:19], v[20:21]
	v_mul_f64 v[18:19], v[140:141], s[6:7]
	v_mul_f64 v[20:21], v[154:155], s[20:21]
	v_add_f64 v[12:13], v[28:29], v[12:13]
	s_delay_alu instid0(VALU_DEP_4) | instskip(NEXT) | instid1(VALU_DEP_4)
	v_add_f64 v[14:15], v[30:31], v[14:15]
	;; [unrolled: 34-line block ×3, first 2 shown]
	v_add_f64 v[20:21], v[20:21], -v[193:194]
	v_mul_f64 v[28:29], v[154:155], s[6:7]
	v_mul_f64 v[30:31], v[148:149], s[6:7]
	v_add_f64 v[34:35], v[34:35], -v[164:165]
	v_add_f64 v[18:19], v[36:37], v[18:19]
	v_add_f64 v[16:17], v[38:39], v[16:17]
	v_mul_f64 v[36:37], v[98:99], s[18:19]
	v_add_f64 v[28:29], v[217:218], v[28:29]
	v_add_f64 v[30:31], v[30:31], -v[213:214]
	v_mul_f64 v[38:39], v[96:97], s[18:19]
	v_add_f64 v[18:19], v[40:41], v[18:19]
	v_add_f64 v[16:17], v[20:21], v[16:17]
	v_mul_f64 v[20:21], v[78:79], s[16:17]
	v_add_f64 v[36:37], v[195:196], v[36:37]
	v_mul_f64 v[40:41], v[144:145], s[8:9]
	v_add_f64 v[38:39], v[38:39], -v[185:186]
	v_add_f64 v[18:19], v[28:29], v[18:19]
	v_add_f64 v[16:17], v[30:31], v[16:17]
	;; [unrolled: 1-line block ×3, first 2 shown]
	v_mul_f64 v[28:29], v[76:77], s[16:17]
	v_mul_f64 v[30:31], v[90:91], s[6:7]
	v_add_f64 v[40:41], v[211:212], v[40:41]
	s_delay_alu instid0(VALU_DEP_4) | instskip(NEXT) | instid1(VALU_DEP_4)
	v_add_f64 v[20:21], v[20:21], v[32:33]
	v_add_f64 v[28:29], v[28:29], -v[160:161]
	s_delay_alu instid0(VALU_DEP_4) | instskip(SKIP_1) | instid1(VALU_DEP_3)
	v_add_f64 v[30:31], v[183:184], v[30:31]
	v_mul_f64 v[32:33], v[148:149], s[10:11]
	v_add_f64 v[22:23], v[28:29], v[22:23]
	s_delay_alu instid0(VALU_DEP_3)
	v_add_f64 v[20:21], v[30:31], v[20:21]
	v_mul_f64 v[28:29], v[140:141], s[8:9]
	v_mul_f64 v[30:31], v[154:155], s[10:11]
	v_add_f64 v[32:33], v[32:33], -v[209:210]
	v_add_f64 v[22:23], v[34:35], v[22:23]
	v_add_f64 v[20:21], v[36:37], v[20:21]
	v_add_f64 v[28:29], v[28:29], -v[199:200]
	v_add_f64 v[30:31], v[219:220], v[30:31]
	v_mul_f64 v[34:35], v[88:89], s[16:17]
	scratch_load_b64 v[36:37], off, off offset:40 ; 8-byte Folded Reload
	v_add_f64 v[22:23], v[38:39], v[22:23]
	v_add_f64 v[20:21], v[40:41], v[20:21]
	v_mul_f64 v[38:39], v[96:97], s[10:11]
	v_mul_f64 v[40:41], v[144:145], s[20:21]
	s_delay_alu instid0(VALU_DEP_4) | instskip(NEXT) | instid1(VALU_DEP_4)
	v_add_f64 v[28:29], v[28:29], v[22:23]
	v_add_f64 v[22:23], v[30:31], v[20:21]
	scratch_load_b64 v[30:31], off, off offset:32 ; 8-byte Folded Reload
	v_add_f64 v[38:39], v[38:39], -v[112:113]
	v_add_f64 v[40:41], v[146:147], v[40:41]
	v_add_f64 v[20:21], v[32:33], v[28:29]
	scratch_load_b64 v[32:33], off, off offset:12 ; 8-byte Folded Reload
	v_mul_f64 v[28:29], v[78:79], s[6:7]
	s_waitcnt vmcnt(2)
	v_add_f64 v[34:35], v[34:35], -v[36:37]
	v_mul_f64 v[36:37], v[98:99], s[10:11]
	s_delay_alu instid0(VALU_DEP_1) | instskip(SKIP_1) | instid1(VALU_DEP_4)
	v_add_f64 v[36:37], v[114:115], v[36:37]
	s_waitcnt vmcnt(1)
	v_add_f64 v[28:29], v[30:31], v[28:29]
	v_mul_f64 v[30:31], v[76:77], s[6:7]
	s_delay_alu instid0(VALU_DEP_2) | instskip(SKIP_1) | instid1(VALU_DEP_2)
	v_add_f64 v[24:25], v[28:29], v[24:25]
	s_waitcnt vmcnt(0)
	v_add_f64 v[30:31], v[30:31], -v[32:33]
	v_mul_f64 v[32:33], v[90:91], s[16:17]
	v_mul_f64 v[28:29], v[140:141], s[20:21]
	s_delay_alu instid0(VALU_DEP_3) | instskip(NEXT) | instid1(VALU_DEP_3)
	v_add_f64 v[26:27], v[30:31], v[26:27]
	v_add_f64 v[32:33], v[94:95], v[32:33]
	s_delay_alu instid0(VALU_DEP_3) | instskip(SKIP_1) | instid1(VALU_DEP_4)
	v_add_f64 v[28:29], v[28:29], -v[142:143]
	v_mul_f64 v[30:31], v[154:155], s[18:19]
	v_add_f64 v[26:27], v[34:35], v[26:27]
	s_delay_alu instid0(VALU_DEP_4) | instskip(SKIP_1) | instid1(VALU_DEP_4)
	v_add_f64 v[24:25], v[32:33], v[24:25]
	v_mul_f64 v[32:33], v[148:149], s[18:19]
	v_add_f64 v[30:31], v[158:159], v[30:31]
	s_delay_alu instid0(VALU_DEP_4) | instskip(NEXT) | instid1(VALU_DEP_4)
	v_add_f64 v[26:27], v[38:39], v[26:27]
	v_add_f64 v[24:25], v[36:37], v[24:25]
	s_delay_alu instid0(VALU_DEP_4) | instskip(NEXT) | instid1(VALU_DEP_3)
	v_add_f64 v[32:33], v[32:33], -v[152:153]
	v_add_f64 v[28:29], v[28:29], v[26:27]
	s_delay_alu instid0(VALU_DEP_3) | instskip(NEXT) | instid1(VALU_DEP_1)
	v_add_f64 v[24:25], v[40:41], v[24:25]
	v_add_f64 v[26:27], v[30:31], v[24:25]
	s_delay_alu instid0(VALU_DEP_3) | instskip(SKIP_1) | instid1(VALU_DEP_1)
	v_add_f64 v[24:25], v[32:33], v[28:29]
	v_mul_lo_u16 v28, v255, 13
	v_and_b32_e32 v28, 0xffff, v28
	s_delay_alu instid0(VALU_DEP_1)
	v_add_lshl_u32 v28, v168, v28, 4
	ds_store_b128 v28, v[8:11] offset:32
	ds_store_b128 v28, v[12:15] offset:48
	;; [unrolled: 1-line block ×11, first 2 shown]
	ds_store_b128 v28, v[4:7]
	ds_store_b128 v28, v[60:63] offset:192
.LBB0_7:
	s_or_b32 exec_lo, exec_lo, s0
	v_add_lshl_u32 v170, v168, v255, 4
	s_waitcnt lgkmcnt(0)
	s_barrier
	buffer_gl0_inv
	v_cmp_gt_u16_e64 s0, 52, v255
	ds_load_b128 v[72:75], v170
	ds_load_b128 v[92:95], v170 offset:2288
	ds_load_b128 v[88:91], v170 offset:4576
	;; [unrolled: 1-line block ×6, first 2 shown]
                                        ; implicit-def: $vgpr100_vgpr101
	s_and_saveexec_b32 s1, s0
	s_cbranch_execz .LBB0_9
; %bb.8:
	ds_load_b128 v[48:51], v170 offset:1456
	ds_load_b128 v[68:71], v170 offset:3744
	ds_load_b128 v[64:67], v170 offset:6032
	ds_load_b128 v[56:59], v170 offset:8320
	ds_load_b128 v[52:55], v170 offset:10608
	ds_load_b128 v[60:63], v170 offset:12896
	ds_load_b128 v[100:103], v170 offset:15184
.LBB0_9:
	s_or_b32 exec_lo, exec_lo, s1
	v_and_b32_e32 v0, 0xff, v255
	v_add_nc_u16 v1, v255, 0x5b
	s_mov_b32 s6, 0x37e14327
	s_mov_b32 s8, 0x36b3c0b5
	;; [unrolled: 1-line block ×3, first 2 shown]
	v_mul_lo_u16 v0, 0x4f, v0
	s_mov_b32 s16, 0x429ad128
	s_mov_b32 s7, 0x3fe948f6
	;; [unrolled: 1-line block ×4, first 2 shown]
	v_lshrrev_b16 v121, 10, v0
	v_and_b32_e32 v0, 0xff, v1
	s_mov_b32 s17, 0x3febfeb5
	s_mov_b32 s20, 0xb247c609
	;; [unrolled: 1-line block ×3, first 2 shown]
	v_mul_lo_u16 v2, v121, 13
	v_mul_lo_u16 v0, 0x4f, v0
	s_mov_b32 s21, 0x3fd5d0dc
	s_mov_b32 s23, 0xbfd5d0dc
	;; [unrolled: 1-line block ×3, first 2 shown]
	v_sub_nc_u16 v2, v255, v2
	v_lshrrev_b16 v104, 10, v0
	s_delay_alu instid0(VALU_DEP_2) | instskip(NEXT) | instid1(VALU_DEP_2)
	v_and_b32_e32 v122, 0xff, v2
	v_mul_lo_u16 v0, v104, 13
	s_delay_alu instid0(VALU_DEP_2) | instskip(NEXT) | instid1(VALU_DEP_2)
	v_mul_u32_u24_e32 v2, 6, v122
	v_sub_nc_u16 v0, v1, v0
	s_delay_alu instid0(VALU_DEP_2) | instskip(NEXT) | instid1(VALU_DEP_2)
	v_lshlrev_b32_e32 v1, 4, v2
	v_and_b32_e32 v0, 0xff, v0
	s_clause 0x1
	global_load_b128 v[36:39], v1, s[2:3]
	global_load_b128 v[28:31], v1, s[2:3] offset:16
	scratch_store_b32 off, v0, off offset:32 ; 4-byte Folded Spill
	v_mul_u32_u24_e32 v0, 6, v0
	s_clause 0x1
	global_load_b128 v[32:35], v1, s[2:3] offset:80
	global_load_b128 v[24:27], v1, s[2:3] offset:64
	v_lshlrev_b32_e32 v0, 4, v0
	s_clause 0x7
	global_load_b128 v[127:130], v0, s[2:3]
	global_load_b128 v[123:126], v0, s[2:3] offset:16
	global_load_b128 v[131:134], v0, s[2:3] offset:80
	;; [unrolled: 1-line block ×7, first 2 shown]
	s_waitcnt vmcnt(11) lgkmcnt(5)
	v_mul_f64 v[0:1], v[94:95], v[38:39]
	v_mul_f64 v[2:3], v[92:93], v[38:39]
	s_waitcnt vmcnt(10) lgkmcnt(4)
	v_mul_f64 v[4:5], v[90:91], v[30:31]
	v_mul_f64 v[6:7], v[88:89], v[30:31]
	;; [unrolled: 3-line block ×3, first 2 shown]
	s_waitcnt vmcnt(8)
	v_mul_f64 v[12:13], v[86:87], v[26:27]
	v_mul_f64 v[14:15], v[84:85], v[26:27]
	s_waitcnt vmcnt(7)
	v_mul_f64 v[16:17], v[70:71], v[129:130]
	v_mul_f64 v[18:19], v[68:69], v[129:130]
	;; [unrolled: 3-line block ×7, first 2 shown]
	scratch_store_b128 off, v[131:134], off offset:88 ; 16-byte Folded Spill
	s_waitcnt vmcnt(0)
	s_clause 0x2
	scratch_store_b128 off, v[135:138], off offset:104
	scratch_store_b128 off, v[143:146], off offset:136
	;; [unrolled: 1-line block ×3, first 2 shown]
	v_fma_f64 v[0:1], v[92:93], v[36:37], -v[0:1]
	v_fma_f64 v[2:3], v[94:95], v[36:37], v[2:3]
	v_fma_f64 v[4:5], v[88:89], v[28:29], -v[4:5]
	v_fma_f64 v[6:7], v[90:91], v[28:29], v[6:7]
	;; [unrolled: 2-line block ×4, first 2 shown]
	v_mul_f64 v[84:85], v[58:59], v[141:142]
	v_mul_f64 v[86:87], v[56:57], v[141:142]
	;; [unrolled: 1-line block ×4, first 2 shown]
	v_fma_f64 v[16:17], v[68:69], v[127:128], -v[16:17]
	v_fma_f64 v[18:19], v[70:71], v[127:128], v[18:19]
	v_fma_f64 v[20:21], v[64:65], v[123:124], -v[20:21]
	v_fma_f64 v[22:23], v[66:67], v[123:124], v[22:23]
	;; [unrolled: 2-line block ×6, first 2 shown]
	v_add_f64 v[80:81], v[0:1], v[8:9]
	v_add_f64 v[82:83], v[2:3], v[10:11]
	;; [unrolled: 1-line block ×4, first 2 shown]
	v_fma_f64 v[56:57], v[56:57], v[139:140], -v[84:85]
	v_fma_f64 v[58:59], v[58:59], v[139:140], v[86:87]
	v_fma_f64 v[52:53], v[52:53], v[135:136], -v[88:89]
	v_fma_f64 v[54:55], v[54:55], v[135:136], v[90:91]
	v_add_f64 v[4:5], v[4:5], -v[12:13]
	v_add_f64 v[6:7], v[6:7], -v[14:15]
	;; [unrolled: 1-line block ×4, first 2 shown]
	v_add_f64 v[84:85], v[16:17], v[64:65]
	v_add_f64 v[86:87], v[18:19], v[66:67]
	;; [unrolled: 1-line block ×4, first 2 shown]
	v_add_f64 v[20:21], v[20:21], -v[60:61]
	v_add_f64 v[22:23], v[22:23], -v[62:63]
	v_add_f64 v[96:97], v[68:69], v[76:77]
	v_add_f64 v[98:99], v[70:71], v[78:79]
	v_add_f64 v[12:13], v[76:77], -v[68:69]
	v_add_f64 v[14:15], v[78:79], -v[70:71]
	v_add_f64 v[18:19], v[18:19], -v[66:67]
	v_add_f64 v[16:17], v[16:17], -v[64:65]
	v_add_f64 v[8:9], v[92:93], v[80:81]
	v_add_f64 v[10:11], v[94:95], v[82:83]
	;; [unrolled: 1-line block ×4, first 2 shown]
	v_add_f64 v[56:57], v[52:53], -v[56:57]
	v_add_f64 v[58:59], v[54:55], -v[58:59]
	;; [unrolled: 1-line block ×4, first 2 shown]
	v_add_f64 v[52:53], v[88:89], v[84:85]
	v_add_f64 v[54:55], v[90:91], v[86:87]
	v_add_f64 v[64:65], v[80:81], -v[96:97]
	v_add_f64 v[66:67], v[82:83], -v[98:99]
	;; [unrolled: 1-line block ×10, first 2 shown]
	v_add_f64 v[4:5], v[12:13], v[4:5]
	v_add_f64 v[6:7], v[14:15], v[6:7]
	v_add_f64 v[12:13], v[0:1], -v[12:13]
	v_add_f64 v[14:15], v[2:3], -v[14:15]
	v_add_f64 v[8:9], v[96:97], v[8:9]
	v_add_f64 v[10:11], v[98:99], v[10:11]
	v_add_f64 v[96:97], v[60:61], -v[88:89]
	v_add_f64 v[98:99], v[62:63], -v[90:91]
	;; [unrolled: 1-line block ×4, first 2 shown]
	v_add_f64 v[20:21], v[56:57], v[20:21]
	v_add_f64 v[22:23], v[58:59], v[22:23]
	v_add_f64 v[56:57], v[16:17], -v[56:57]
	v_add_f64 v[58:59], v[18:19], -v[58:59]
	v_add_f64 v[113:114], v[60:61], v[52:53]
	v_add_f64 v[115:116], v[62:63], v[54:55]
	v_add_f64 v[60:61], v[84:85], -v[60:61]
	v_add_f64 v[62:63], v[86:87], -v[62:63]
	v_mul_f64 v[64:65], v[64:65], s[6:7]
	v_mul_f64 v[66:67], v[66:67], s[6:7]
	;; [unrolled: 1-line block ×6, first 2 shown]
	v_add_f64 v[84:85], v[88:89], -v[84:85]
	v_add_f64 v[86:87], v[90:91], -v[86:87]
	v_mul_f64 v[88:89], v[100:101], s[16:17]
	v_mul_f64 v[90:91], v[102:103], s[16:17]
	v_mul_f64 v[119:120], v[111:112], s[16:17]
	v_mul_f64 v[117:118], v[109:110], s[16:17]
	v_add_f64 v[0:1], v[4:5], v[0:1]
	v_add_f64 v[2:3], v[6:7], v[2:3]
	;; [unrolled: 1-line block ×4, first 2 shown]
	v_mul_f64 v[72:73], v[96:97], s[8:9]
	v_mul_f64 v[74:75], v[98:99], s[8:9]
	v_mul_f64 v[105:106], v[105:106], s[10:11]
	v_mul_f64 v[107:108], v[107:108], s[10:11]
	s_mov_b32 s10, 0xaaaaaaaa
	s_mov_b32 s11, 0xbff2aaaa
	v_add_f64 v[6:7], v[20:21], v[16:17]
	v_add_f64 v[16:17], v[22:23], v[18:19]
	;; [unrolled: 1-line block ×4, first 2 shown]
	v_mul_f64 v[60:61], v[60:61], s[6:7]
	v_mul_f64 v[62:63], v[62:63], s[6:7]
	s_mov_b32 s6, 0x5476071b
	s_mov_b32 s7, 0x3fe77f67
	;; [unrolled: 1-line block ×3, first 2 shown]
	v_fma_f64 v[4:5], v[68:69], s[8:9], v[64:65]
	v_fma_f64 v[18:19], v[70:71], s[8:9], v[66:67]
	v_fma_f64 v[20:21], v[80:81], s[6:7], -v[92:93]
	v_fma_f64 v[22:23], v[82:83], s[6:7], -v[94:95]
	v_fma_f64 v[68:69], v[12:13], s[20:21], v[76:77]
	v_fma_f64 v[70:71], v[14:15], s[20:21], v[78:79]
	v_fma_f64 v[76:77], v[100:101], s[16:17], -v[76:77]
	v_fma_f64 v[78:79], v[102:103], s[16:17], -v[78:79]
	;; [unrolled: 1-line block ×6, first 2 shown]
	v_fma_f64 v[8:9], v[8:9], s[10:11], v[52:53]
	v_fma_f64 v[10:11], v[10:11], s[10:11], v[54:55]
	v_fma_f64 v[72:73], v[84:85], s[6:7], -v[72:73]
	v_fma_f64 v[74:75], v[86:87], s[6:7], -v[74:75]
	v_fma_f64 v[80:81], v[56:57], s[20:21], v[105:106]
	v_fma_f64 v[82:83], v[58:59], s[20:21], v[107:108]
	v_fma_f64 v[90:91], v[111:112], s[16:17], -v[107:108]
	v_fma_f64 v[58:59], v[58:59], s[22:23], -v[119:120]
	;; [unrolled: 1-line block ×4, first 2 shown]
	v_fma_f64 v[92:93], v[113:114], s[10:11], v[48:49]
	v_fma_f64 v[94:95], v[115:116], s[10:11], v[50:51]
	v_fma_f64 v[84:85], v[84:85], s[18:19], -v[60:61]
	v_fma_f64 v[86:87], v[86:87], s[18:19], -v[62:63]
	v_fma_f64 v[60:61], v[96:97], s[8:9], v[60:61]
	v_fma_f64 v[62:63], v[98:99], s[8:9], v[62:63]
	s_mov_b32 s6, 0x37c3f68c
	s_mov_b32 s7, 0x3fdc38aa
	s_delay_alu instid0(SALU_CYCLE_1)
	v_fma_f64 v[96:97], v[0:1], s[6:7], v[68:69]
	v_fma_f64 v[98:99], v[2:3], s[6:7], v[70:71]
	;; [unrolled: 1-line block ×6, first 2 shown]
	v_add_f64 v[100:101], v[4:5], v[8:9]
	v_add_f64 v[105:106], v[64:65], v[8:9]
	v_add_f64 v[109:110], v[20:21], v[8:9]
	v_add_f64 v[102:103], v[18:19], v[10:11]
	v_add_f64 v[107:108], v[66:67], v[10:11]
	v_add_f64 v[111:112], v[22:23], v[10:11]
	v_fma_f64 v[4:5], v[6:7], s[6:7], v[80:81]
	v_fma_f64 v[0:1], v[16:17], s[6:7], v[82:83]
	;; [unrolled: 1-line block ×6, first 2 shown]
	v_add_f64 v[6:7], v[72:73], v[92:93]
	v_add_f64 v[22:23], v[74:75], v[94:95]
	;; [unrolled: 1-line block ×6, first 2 shown]
	s_load_b128 s[4:7], s[4:5], 0x0
	v_add_f64 v[56:57], v[98:99], v[100:101]
	v_add_f64 v[60:61], v[78:79], v[105:106]
	v_add_f64 v[72:73], v[105:106], -v[78:79]
	v_add_f64 v[58:59], v[102:103], -v[96:97]
	;; [unrolled: 1-line block ×3, first 2 shown]
	v_add_f64 v[74:75], v[76:77], v[107:108]
	v_add_f64 v[76:77], v[100:101], -v[98:99]
	v_add_f64 v[78:79], v[96:97], v[102:103]
	v_add_f64 v[64:65], v[109:110], -v[68:69]
	v_add_f64 v[66:67], v[70:71], v[111:112]
	v_add_f64 v[68:69], v[68:69], v[109:110]
	v_add_f64 v[70:71], v[111:112], -v[70:71]
	v_add_f64 v[96:97], v[2:3], v[6:7]
	v_add_f64 v[98:99], v[22:23], -v[18:19]
	v_add_f64 v[92:93], v[10:11], -v[8:9]
	v_add_f64 v[94:95], v[14:15], v[20:21]
	v_add_f64 v[80:81], v[12:13], -v[0:1]
	v_add_f64 v[82:83], v[4:5], v[16:17]
	s_clause 0x1
	scratch_store_b128 off, v[123:126], off offset:56
	scratch_store_b128 off, v[80:83], off offset:12
	v_and_b32_e32 v80, 0xffff, v121
	s_delay_alu instid0(VALU_DEP_1) | instskip(NEXT) | instid1(VALU_DEP_1)
	v_mul_u32_u24_e32 v80, 0x5b, v80
	v_add_nc_u32_e32 v80, v80, v122
	s_delay_alu instid0(VALU_DEP_1)
	v_add_lshl_u32 v81, v168, v80, 4
	v_and_b32_e32 v80, 0xffff, v104
	s_clause 0x1
	scratch_store_b128 off, v[127:130], off offset:72
	scratch_store_b32 off, v80, off offset:40
	s_waitcnt lgkmcnt(0)
	s_waitcnt_vscnt null, 0x0
	s_barrier
	buffer_gl0_inv
	ds_store_b128 v81, v[52:55]
	ds_store_b128 v81, v[56:59] offset:208
	ds_store_b128 v81, v[60:63] offset:416
	;; [unrolled: 1-line block ×5, first 2 shown]
	scratch_store_b32 off, v81, off offset:48 ; 4-byte Folded Spill
	ds_store_b128 v81, v[76:79] offset:1248
	s_and_saveexec_b32 s1, s0
	s_cbranch_execz .LBB0_11
; %bb.10:
	v_add_f64 v[14:15], v[20:21], -v[14:15]
	v_add_f64 v[20:21], v[0:1], v[12:13]
	s_clause 0x1
	scratch_load_b32 v0, off, off offset:40
	scratch_load_b32 v1, off, off offset:32
	v_add_f64 v[18:19], v[18:19], v[22:23]
	v_add_f64 v[22:23], v[16:17], -v[4:5]
	v_add_f64 v[12:13], v[8:9], v[10:11]
	v_add_f64 v[16:17], v[6:7], -v[2:3]
	s_waitcnt vmcnt(1)
	v_mul_u32_u24_e32 v0, 0x5b, v0
	s_waitcnt vmcnt(0)
	s_delay_alu instid0(VALU_DEP_1) | instskip(NEXT) | instid1(VALU_DEP_1)
	v_add_nc_u32_e32 v0, v0, v1
	v_add_lshl_u32 v0, v168, v0, 4
	ds_store_b128 v0, v[96:99] offset:832
	ds_store_b128 v0, v[92:95] offset:1040
	ds_store_b128 v0, v[48:51]
	ds_store_b128 v0, v[20:23] offset:208
	ds_store_b128 v0, v[12:15] offset:416
	;; [unrolled: 1-line block ×3, first 2 shown]
	scratch_load_b128 v[1:4], off, off offset:12 ; 16-byte Folded Reload
	s_waitcnt vmcnt(0)
	ds_store_b128 v0, v[1:4] offset:1248
.LBB0_11:
	s_or_b32 exec_lo, exec_lo, s1
	v_mad_u64_u32 v[84:85], null, 0xa0, v255, s[2:3]
	s_waitcnt lgkmcnt(0)
	s_waitcnt_vscnt null, 0x0
	s_barrier
	buffer_gl0_inv
	s_mov_b32 s26, 0xf8bb580b
	s_mov_b32 s20, 0x43842ef
	;; [unrolled: 1-line block ×3, first 2 shown]
	s_clause 0x3
	global_load_b128 v[56:59], v[84:85], off offset:1248
	global_load_b128 v[48:51], v[84:85], off offset:1392
	;; [unrolled: 1-line block ×4, first 2 shown]
	ds_load_b128 v[68:71], v170 offset:1456
	ds_load_b128 v[72:75], v170 offset:14560
	ds_load_b128 v[0:3], v170
	s_mov_b32 s28, 0xfd768dbf
	s_mov_b32 s27, 0xbfe14ced
	;; [unrolled: 1-line block ×23, first 2 shown]
	v_mov_b32_e32 v247, v255
	s_waitcnt vmcnt(3) lgkmcnt(2)
	v_mul_f64 v[4:5], v[70:71], v[58:59]
	v_mul_f64 v[6:7], v[68:69], v[58:59]
	s_waitcnt vmcnt(2) lgkmcnt(1)
	v_mul_f64 v[8:9], v[72:73], v[50:51]
	v_mul_f64 v[10:11], v[74:75], v[50:51]
	s_delay_alu instid0(VALU_DEP_4) | instskip(NEXT) | instid1(VALU_DEP_4)
	v_fma_f64 v[16:17], v[68:69], v[56:57], -v[4:5]
	v_fma_f64 v[18:19], v[70:71], v[56:57], v[6:7]
	ds_load_b128 v[4:7], v170 offset:2912
	v_fma_f64 v[20:21], v[74:75], v[48:49], v[8:9]
	v_fma_f64 v[22:23], v[72:73], v[48:49], -v[10:11]
	ds_load_b128 v[8:11], v170 offset:4368
	s_waitcnt vmcnt(1) lgkmcnt(1)
	v_mul_f64 v[12:13], v[6:7], v[62:63]
	v_add_f64 v[132:133], v[18:19], v[20:21]
	v_add_f64 v[112:113], v[16:17], v[22:23]
	s_delay_alu instid0(VALU_DEP_3) | instskip(SKIP_1) | instid1(VALU_DEP_1)
	v_fma_f64 v[64:65], v[4:5], v[60:61], -v[12:13]
	v_mul_f64 v[4:5], v[4:5], v[62:63]
	v_fma_f64 v[66:67], v[6:7], v[60:61], v[4:5]
	ds_load_b128 v[4:7], v170 offset:13104
	ds_load_b128 v[12:15], v170 offset:11648
	s_waitcnt vmcnt(0) lgkmcnt(1)
	v_mul_f64 v[68:69], v[4:5], v[54:55]
	s_delay_alu instid0(VALU_DEP_1)
	v_fma_f64 v[104:105], v[6:7], v[52:53], v[68:69]
	s_clause 0x3
	global_load_b128 v[72:75], v[84:85], off offset:1280
	global_load_b128 v[68:71], v[84:85], off offset:1296
	;; [unrolled: 1-line block ×4, first 2 shown]
	v_mul_f64 v[6:7], v[6:7], v[54:55]
	v_add_f64 v[173:174], v[66:67], v[104:105]
	s_delay_alu instid0(VALU_DEP_2) | instskip(NEXT) | instid1(VALU_DEP_1)
	v_fma_f64 v[106:107], v[4:5], v[52:53], -v[6:7]
	v_add_f64 v[168:169], v[64:65], v[106:107]
	s_waitcnt vmcnt(3)
	v_mul_f64 v[4:5], v[10:11], v[74:75]
	s_delay_alu instid0(VALU_DEP_1) | instskip(SKIP_1) | instid1(VALU_DEP_1)
	v_fma_f64 v[144:145], v[8:9], v[72:73], -v[4:5]
	v_mul_f64 v[4:5], v[8:9], v[74:75]
	v_fma_f64 v[146:147], v[10:11], v[72:73], v[4:5]
	s_waitcnt vmcnt(1) lgkmcnt(0)
	v_mul_f64 v[4:5], v[12:13], v[82:83]
	s_delay_alu instid0(VALU_DEP_1) | instskip(SKIP_1) | instid1(VALU_DEP_2)
	v_fma_f64 v[148:149], v[14:15], v[80:81], v[4:5]
	v_mul_f64 v[4:5], v[14:15], v[82:83]
	v_add_f64 v[183:184], v[146:147], v[148:149]
	s_delay_alu instid0(VALU_DEP_2)
	v_fma_f64 v[150:151], v[12:13], v[80:81], -v[4:5]
	ds_load_b128 v[4:7], v170 offset:5824
	ds_load_b128 v[8:11], v170 offset:7280
	s_waitcnt lgkmcnt(1)
	v_mul_f64 v[12:13], v[6:7], v[70:71]
	v_add_f64 v[177:178], v[144:145], v[150:151]
	v_add_f64 v[181:182], v[144:145], -v[150:151]
	s_delay_alu instid0(VALU_DEP_3) | instskip(SKIP_1) | instid1(VALU_DEP_3)
	v_fma_f64 v[152:153], v[4:5], v[68:69], -v[12:13]
	v_mul_f64 v[4:5], v[4:5], v[70:71]
	v_mul_f64 v[185:186], v[181:182], s[20:21]
	;; [unrolled: 1-line block ×4, first 2 shown]
	s_delay_alu instid0(VALU_DEP_4) | instskip(SKIP_4) | instid1(VALU_DEP_1)
	v_fma_f64 v[154:155], v[6:7], v[68:69], v[4:5]
	ds_load_b128 v[4:7], v170 offset:10192
	ds_load_b128 v[12:15], v170 offset:8736
	s_waitcnt vmcnt(0) lgkmcnt(1)
	v_mul_f64 v[86:87], v[6:7], v[78:79]
	v_fma_f64 v[156:157], v[4:5], v[76:77], -v[86:87]
	s_clause 0x1
	global_load_b128 v[88:91], v[84:85], off offset:1312
	global_load_b128 v[84:87], v[84:85], off offset:1328
	v_mul_f64 v[4:5], v[4:5], v[78:79]
	v_add_f64 v[189:190], v[152:153], v[156:157]
	v_add_f64 v[193:194], v[152:153], -v[156:157]
	s_delay_alu instid0(VALU_DEP_3) | instskip(NEXT) | instid1(VALU_DEP_2)
	v_fma_f64 v[4:5], v[6:7], v[76:77], v[4:5]
	v_mul_f64 v[197:198], v[193:194], s[24:25]
	s_delay_alu instid0(VALU_DEP_2)
	v_add_f64 v[187:188], v[154:155], -v[4:5]
	v_add_f64 v[195:196], v[154:155], v[4:5]
	v_mul_f64 v[219:220], v[193:194], s[34:35]
	v_mul_f64 v[233:234], v[193:194], s[26:27]
	;; [unrolled: 1-line block ×7, first 2 shown]
	s_waitcnt vmcnt(1)
	v_mul_f64 v[6:7], v[10:11], v[90:91]
	s_delay_alu instid0(VALU_DEP_1) | instskip(SKIP_1) | instid1(VALU_DEP_1)
	v_fma_f64 v[6:7], v[8:9], v[88:89], -v[6:7]
	v_mul_f64 v[8:9], v[8:9], v[90:91]
	v_fma_f64 v[8:9], v[10:11], v[88:89], v[8:9]
	s_waitcnt vmcnt(0) lgkmcnt(0)
	v_mul_f64 v[10:11], v[14:15], v[86:87]
	s_delay_alu instid0(VALU_DEP_1) | instskip(SKIP_1) | instid1(VALU_DEP_2)
	v_fma_f64 v[10:11], v[12:13], v[84:85], -v[10:11]
	v_mul_f64 v[12:13], v[12:13], v[86:87]
	v_add_f64 v[201:202], v[6:7], v[10:11]
	s_delay_alu instid0(VALU_DEP_2) | instskip(SKIP_3) | instid1(VALU_DEP_4)
	v_fma_f64 v[12:13], v[14:15], v[84:85], v[12:13]
	v_add_f64 v[14:15], v[18:19], -v[20:21]
	v_add_f64 v[18:19], v[2:3], v[18:19]
	v_add_f64 v[205:206], v[6:7], -v[10:11]
	v_add_f64 v[199:200], v[8:9], -v[12:13]
	s_delay_alu instid0(VALU_DEP_4)
	v_mul_f64 v[100:101], v[14:15], s[26:27]
	v_mul_f64 v[102:103], v[14:15], s[22:23]
	;; [unrolled: 1-line block ×5, first 2 shown]
	v_add_f64 v[207:208], v[8:9], v[12:13]
	v_mul_f64 v[209:210], v[205:206], s[28:29]
	v_mul_f64 v[223:224], v[205:206], s[36:37]
	;; [unrolled: 1-line block ×4, first 2 shown]
	v_fma_f64 v[114:115], v[112:113], s[18:19], -v[100:101]
	v_fma_f64 v[100:101], v[112:113], s[18:19], v[100:101]
	v_fma_f64 v[116:117], v[112:113], s[10:11], -v[102:103]
	v_fma_f64 v[102:103], v[112:113], s[10:11], v[102:103]
	v_fma_f64 v[118:119], v[112:113], s[16:17], -v[108:109]
	v_fma_f64 v[108:109], v[112:113], s[16:17], v[108:109]
	v_fma_f64 v[120:121], v[112:113], s[8:9], -v[110:111]
	v_fma_f64 v[110:111], v[112:113], s[8:9], v[110:111]
	v_fma_f64 v[122:123], v[112:113], s[2:3], -v[14:15]
	v_fma_f64 v[14:15], v[112:113], s[2:3], v[14:15]
	v_add_f64 v[112:113], v[16:17], -v[22:23]
	v_add_f64 v[16:17], v[0:1], v[16:17]
	v_mul_f64 v[221:222], v[199:200], s[36:37]
	v_mul_f64 v[235:236], v[199:200], s[24:25]
	v_add_f64 v[158:159], v[0:1], v[114:115]
	v_add_f64 v[100:101], v[0:1], v[100:101]
	;; [unrolled: 1-line block ×7, first 2 shown]
	v_mul_f64 v[124:125], v[112:113], s[26:27]
	v_mul_f64 v[126:127], v[112:113], s[22:23]
	;; [unrolled: 1-line block ×5, first 2 shown]
	v_fma_f64 v[142:143], v[132:133], s[18:19], -v[124:125]
	v_fma_f64 v[134:135], v[132:133], s[10:11], v[126:127]
	v_fma_f64 v[126:127], v[132:133], s[10:11], -v[126:127]
	v_fma_f64 v[136:137], v[132:133], s[16:17], v[128:129]
	;; [unrolled: 2-line block ×5, first 2 shown]
	v_add_f64 v[114:115], v[2:3], v[142:143]
	v_add_f64 v[132:133], v[2:3], v[134:135]
	;; [unrolled: 1-line block ×13, first 2 shown]
	v_add_f64 v[124:125], v[66:67], -v[104:105]
	v_add_f64 v[126:127], v[64:65], -v[106:107]
	;; [unrolled: 1-line block ×3, first 2 shown]
	s_delay_alu instid0(VALU_DEP_3) | instskip(NEXT) | instid1(VALU_DEP_3)
	v_mul_f64 v[171:172], v[124:125], s[22:23]
	v_mul_f64 v[175:176], v[126:127], s[22:23]
	s_delay_alu instid0(VALU_DEP_3)
	v_mul_f64 v[179:180], v[128:129], s[20:21]
	v_mul_f64 v[211:212], v[124:125], s[24:25]
	;; [unrolled: 1-line block ×4, first 2 shown]
	s_mov_b32 s23, 0x3fed1bb4
	v_mul_f64 v[239:240], v[124:125], s[34:35]
	v_mul_f64 v[227:228], v[128:129], s[22:23]
	;; [unrolled: 1-line block ×9, first 2 shown]
	v_fma_f64 v[102:103], v[168:169], s[10:11], v[171:172]
	v_fma_f64 v[108:109], v[177:178], s[16:17], v[179:180]
	v_fma_f64 v[112:113], v[177:178], s[2:3], -v[213:214]
	v_fma_f64 v[122:123], v[177:178], s[10:11], -v[227:228]
	s_delay_alu instid0(VALU_DEP_4) | instskip(SKIP_1) | instid1(VALU_DEP_2)
	v_add_f64 v[100:101], v[102:103], v[100:101]
	v_fma_f64 v[102:103], v[173:174], s[10:11], -v[175:176]
	v_add_f64 v[100:101], v[108:109], v[100:101]
	s_delay_alu instid0(VALU_DEP_2) | instskip(SKIP_1) | instid1(VALU_DEP_1)
	v_add_f64 v[102:103], v[102:103], v[114:115]
	v_fma_f64 v[108:109], v[183:184], s[16:17], -v[185:186]
	v_add_f64 v[102:103], v[108:109], v[102:103]
	v_fma_f64 v[108:109], v[189:190], s[8:9], v[191:192]
	s_delay_alu instid0(VALU_DEP_1) | instskip(SKIP_1) | instid1(VALU_DEP_1)
	v_add_f64 v[100:101], v[108:109], v[100:101]
	v_fma_f64 v[108:109], v[195:196], s[8:9], -v[197:198]
	v_add_f64 v[102:103], v[108:109], v[102:103]
	v_fma_f64 v[108:109], v[201:202], s[2:3], v[203:204]
	s_delay_alu instid0(VALU_DEP_1) | instskip(SKIP_1) | instid1(VALU_DEP_1)
	v_add_f64 v[100:101], v[108:109], v[100:101]
	v_fma_f64 v[108:109], v[207:208], s[2:3], -v[209:210]
	v_add_f64 v[102:103], v[108:109], v[102:103]
	v_fma_f64 v[108:109], v[168:169], s[8:9], -v[211:212]
	s_delay_alu instid0(VALU_DEP_1) | instskip(SKIP_1) | instid1(VALU_DEP_2)
	v_add_f64 v[108:109], v[108:109], v[116:117]
	v_mul_f64 v[116:117], v[126:127], s[24:25]
	v_add_f64 v[108:109], v[112:113], v[108:109]
	s_delay_alu instid0(VALU_DEP_2) | instskip(SKIP_1) | instid1(VALU_DEP_2)
	v_fma_f64 v[110:111], v[173:174], s[8:9], v[116:117]
	v_fma_f64 v[112:113], v[183:184], s[2:3], v[215:216]
	v_add_f64 v[110:111], v[110:111], v[132:133]
	v_fma_f64 v[132:133], v[177:178], s[18:19], -v[243:244]
	s_delay_alu instid0(VALU_DEP_2) | instskip(SKIP_1) | instid1(VALU_DEP_1)
	v_add_f64 v[110:111], v[112:113], v[110:111]
	v_fma_f64 v[112:113], v[189:190], s[16:17], -v[217:218]
	v_add_f64 v[108:109], v[112:113], v[108:109]
	v_fma_f64 v[112:113], v[195:196], s[16:17], v[219:220]
	s_delay_alu instid0(VALU_DEP_1) | instskip(SKIP_1) | instid1(VALU_DEP_1)
	v_add_f64 v[110:111], v[112:113], v[110:111]
	v_fma_f64 v[112:113], v[201:202], s[18:19], -v[221:222]
	v_add_f64 v[108:109], v[112:113], v[108:109]
	v_fma_f64 v[112:113], v[207:208], s[18:19], v[223:224]
	s_delay_alu instid0(VALU_DEP_1) | instskip(SKIP_1) | instid1(VALU_DEP_1)
	v_add_f64 v[110:111], v[112:113], v[110:111]
	v_fma_f64 v[112:113], v[168:169], s[2:3], -v[225:226]
	v_add_f64 v[112:113], v[112:113], v[118:119]
	v_mul_f64 v[118:119], v[126:127], s[30:31]
	v_mul_f64 v[126:127], v[126:127], s[36:37]
	s_delay_alu instid0(VALU_DEP_3) | instskip(NEXT) | instid1(VALU_DEP_3)
	v_add_f64 v[112:113], v[122:123], v[112:113]
	v_fma_f64 v[114:115], v[173:174], s[2:3], v[118:119]
	v_fma_f64 v[122:123], v[183:184], s[10:11], v[229:230]
	s_delay_alu instid0(VALU_DEP_2) | instskip(SKIP_1) | instid1(VALU_DEP_2)
	v_add_f64 v[114:115], v[114:115], v[134:135]
	v_fma_f64 v[134:135], v[173:174], s[18:19], v[126:127]
	v_add_f64 v[114:115], v[122:123], v[114:115]
	v_fma_f64 v[122:123], v[189:190], s[18:19], -v[231:232]
	s_delay_alu instid0(VALU_DEP_3)
	v_add_f64 v[134:135], v[134:135], v[140:141]
	v_mul_f64 v[140:141], v[181:182], s[24:25]
	v_mul_f64 v[181:182], v[187:188], s[22:23]
	;; [unrolled: 1-line block ×5, first 2 shown]
	v_add_f64 v[112:113], v[122:123], v[112:113]
	v_fma_f64 v[122:123], v[195:196], s[18:19], v[233:234]
	s_delay_alu instid0(VALU_DEP_1) | instskip(SKIP_1) | instid1(VALU_DEP_1)
	v_add_f64 v[114:115], v[122:123], v[114:115]
	v_fma_f64 v[122:123], v[201:202], s[8:9], -v[235:236]
	v_add_f64 v[112:113], v[122:123], v[112:113]
	v_fma_f64 v[122:123], v[207:208], s[8:9], v[237:238]
	s_delay_alu instid0(VALU_DEP_1) | instskip(SKIP_1) | instid1(VALU_DEP_1)
	v_add_f64 v[114:115], v[122:123], v[114:115]
	v_fma_f64 v[122:123], v[168:169], s[16:17], -v[239:240]
	v_add_f64 v[120:121], v[122:123], v[120:121]
	v_fma_f64 v[122:123], v[173:174], s[16:17], v[241:242]
	s_delay_alu instid0(VALU_DEP_2) | instskip(NEXT) | instid1(VALU_DEP_2)
	v_add_f64 v[120:121], v[132:133], v[120:121]
	v_add_f64 v[122:123], v[122:123], v[136:137]
	v_fma_f64 v[132:133], v[183:184], s[18:19], v[245:246]
	v_fma_f64 v[136:137], v[177:178], s[8:9], -v[128:129]
	s_delay_alu instid0(VALU_DEP_2) | instskip(SKIP_1) | instid1(VALU_DEP_1)
	v_add_f64 v[122:123], v[132:133], v[122:123]
	v_fma_f64 v[132:133], v[189:190], s[2:3], -v[248:249]
	v_add_f64 v[120:121], v[132:133], v[120:121]
	v_fma_f64 v[132:133], v[195:196], s[2:3], v[250:251]
	s_delay_alu instid0(VALU_DEP_1) | instskip(SKIP_1) | instid1(VALU_DEP_1)
	v_add_f64 v[122:123], v[132:133], v[122:123]
	v_fma_f64 v[132:133], v[201:202], s[10:11], -v[252:253]
	v_add_f64 v[120:121], v[132:133], v[120:121]
	v_fma_f64 v[132:133], v[207:208], s[10:11], v[254:255]
	s_delay_alu instid0(VALU_DEP_1) | instskip(SKIP_2) | instid1(VALU_DEP_2)
	v_add_f64 v[122:123], v[132:133], v[122:123]
	v_fma_f64 v[132:133], v[168:169], s[18:19], -v[124:125]
	v_fma_f64 v[124:125], v[168:169], s[18:19], v[124:125]
	v_add_f64 v[132:133], v[132:133], v[138:139]
	s_delay_alu instid0(VALU_DEP_2) | instskip(SKIP_2) | instid1(VALU_DEP_4)
	v_add_f64 v[0:1], v[124:125], v[0:1]
	v_fma_f64 v[124:125], v[173:174], s[18:19], -v[126:127]
	v_fma_f64 v[126:127], v[207:208], s[16:17], -v[199:200]
	v_add_f64 v[132:133], v[136:137], v[132:133]
	v_fma_f64 v[136:137], v[183:184], s[8:9], v[140:141]
	s_delay_alu instid0(VALU_DEP_4) | instskip(SKIP_1) | instid1(VALU_DEP_3)
	v_add_f64 v[14:15], v[124:125], v[14:15]
	v_fma_f64 v[124:125], v[177:178], s[8:9], v[128:129]
	v_add_f64 v[134:135], v[136:137], v[134:135]
	v_fma_f64 v[136:137], v[189:190], s[10:11], -v[181:182]
	s_delay_alu instid0(VALU_DEP_3) | instskip(SKIP_2) | instid1(VALU_DEP_4)
	v_add_f64 v[0:1], v[124:125], v[0:1]
	v_fma_f64 v[124:125], v[183:184], s[8:9], -v[140:141]
	v_fma_f64 v[140:141], v[177:178], s[16:17], -v[179:180]
	v_add_f64 v[132:133], v[136:137], v[132:133]
	v_fma_f64 v[136:137], v[195:196], s[10:11], v[187:188]
	s_delay_alu instid0(VALU_DEP_4) | instskip(SKIP_1) | instid1(VALU_DEP_3)
	v_add_f64 v[14:15], v[124:125], v[14:15]
	v_fma_f64 v[124:125], v[189:190], s[10:11], v[181:182]
	v_add_f64 v[134:135], v[136:137], v[134:135]
	v_fma_f64 v[136:137], v[201:202], s[16:17], -v[193:194]
	s_delay_alu instid0(VALU_DEP_3) | instskip(SKIP_1) | instid1(VALU_DEP_3)
	v_add_f64 v[0:1], v[124:125], v[0:1]
	v_fma_f64 v[124:125], v[195:196], s[10:11], -v[187:188]
	v_add_f64 v[136:137], v[136:137], v[132:133]
	v_fma_f64 v[132:133], v[207:208], s[16:17], v[199:200]
	s_delay_alu instid0(VALU_DEP_3) | instskip(SKIP_1) | instid1(VALU_DEP_3)
	v_add_f64 v[14:15], v[124:125], v[14:15]
	v_fma_f64 v[124:125], v[201:202], s[16:17], v[193:194]
	v_add_f64 v[138:139], v[132:133], v[134:135]
	s_delay_alu instid0(VALU_DEP_3) | instskip(NEXT) | instid1(VALU_DEP_3)
	v_add_f64 v[134:135], v[126:127], v[14:15]
	v_add_f64 v[132:133], v[124:125], v[0:1]
	v_fma_f64 v[0:1], v[168:169], s[16:17], v[239:240]
	v_fma_f64 v[14:15], v[173:174], s[16:17], -v[241:242]
	v_fma_f64 v[124:125], v[177:178], s[18:19], v[243:244]
	v_fma_f64 v[126:127], v[207:208], s[10:11], -v[254:255]
	v_mov_b32_e32 v254, v247
	v_add_f64 v[0:1], v[0:1], v[162:163]
	v_add_f64 v[14:15], v[14:15], v[130:131]
	s_delay_alu instid0(VALU_DEP_2) | instskip(SKIP_1) | instid1(VALU_DEP_1)
	v_add_f64 v[0:1], v[124:125], v[0:1]
	v_fma_f64 v[124:125], v[183:184], s[18:19], -v[245:246]
	v_add_f64 v[14:15], v[124:125], v[14:15]
	v_fma_f64 v[124:125], v[189:190], s[2:3], v[248:249]
	s_delay_alu instid0(VALU_DEP_1) | instskip(SKIP_1) | instid1(VALU_DEP_1)
	v_add_f64 v[0:1], v[124:125], v[0:1]
	v_fma_f64 v[124:125], v[195:196], s[2:3], -v[250:251]
	v_add_f64 v[14:15], v[124:125], v[14:15]
	v_fma_f64 v[124:125], v[201:202], s[10:11], v[252:253]
	s_delay_alu instid0(VALU_DEP_2) | instskip(NEXT) | instid1(VALU_DEP_2)
	v_add_f64 v[130:131], v[126:127], v[14:15]
	v_add_f64 v[128:129], v[124:125], v[0:1]
	v_fma_f64 v[0:1], v[168:169], s[2:3], v[225:226]
	v_fma_f64 v[14:15], v[173:174], s[2:3], -v[118:119]
	v_fma_f64 v[118:119], v[177:178], s[10:11], v[227:228]
	v_fma_f64 v[126:127], v[207:208], s[8:9], -v[237:238]
	s_delay_alu instid0(VALU_DEP_4) | instskip(NEXT) | instid1(VALU_DEP_4)
	v_add_f64 v[0:1], v[0:1], v[160:161]
	v_add_f64 v[14:15], v[14:15], v[164:165]
	s_delay_alu instid0(VALU_DEP_2) | instskip(SKIP_1) | instid1(VALU_DEP_1)
	v_add_f64 v[0:1], v[118:119], v[0:1]
	v_fma_f64 v[118:119], v[183:184], s[10:11], -v[229:230]
	v_add_f64 v[14:15], v[118:119], v[14:15]
	v_fma_f64 v[118:119], v[189:190], s[18:19], v[231:232]
	s_delay_alu instid0(VALU_DEP_1) | instskip(SKIP_1) | instid1(VALU_DEP_1)
	v_add_f64 v[0:1], v[118:119], v[0:1]
	v_fma_f64 v[118:119], v[195:196], s[18:19], -v[233:234]
	v_add_f64 v[14:15], v[118:119], v[14:15]
	v_fma_f64 v[118:119], v[201:202], s[8:9], v[235:236]
	s_delay_alu instid0(VALU_DEP_2) | instskip(NEXT) | instid1(VALU_DEP_2)
	v_add_f64 v[126:127], v[126:127], v[14:15]
	v_add_f64 v[124:125], v[118:119], v[0:1]
	v_fma_f64 v[0:1], v[168:169], s[8:9], v[211:212]
	v_fma_f64 v[14:15], v[173:174], s[8:9], -v[116:117]
	v_fma_f64 v[116:117], v[177:178], s[2:3], v[213:214]
	v_fma_f64 v[118:119], v[207:208], s[18:19], -v[223:224]
	s_delay_alu instid0(VALU_DEP_4) | instskip(NEXT) | instid1(VALU_DEP_4)
	v_add_f64 v[0:1], v[0:1], v[142:143]
	v_add_f64 v[14:15], v[14:15], v[166:167]
	v_fma_f64 v[142:143], v[183:184], s[16:17], v[185:186]
	s_delay_alu instid0(VALU_DEP_3) | instskip(SKIP_1) | instid1(VALU_DEP_1)
	v_add_f64 v[0:1], v[116:117], v[0:1]
	v_fma_f64 v[116:117], v[183:184], s[2:3], -v[215:216]
	v_add_f64 v[14:15], v[116:117], v[14:15]
	v_fma_f64 v[116:117], v[189:190], s[16:17], v[217:218]
	s_delay_alu instid0(VALU_DEP_1) | instskip(SKIP_1) | instid1(VALU_DEP_1)
	v_add_f64 v[0:1], v[116:117], v[0:1]
	v_fma_f64 v[116:117], v[195:196], s[16:17], -v[219:220]
	v_add_f64 v[14:15], v[116:117], v[14:15]
	v_fma_f64 v[116:117], v[201:202], s[18:19], v[221:222]
	s_delay_alu instid0(VALU_DEP_2) | instskip(NEXT) | instid1(VALU_DEP_2)
	v_add_f64 v[118:119], v[118:119], v[14:15]
	v_add_f64 v[116:117], v[116:117], v[0:1]
	v_fma_f64 v[0:1], v[168:169], s[10:11], -v[171:172]
	v_fma_f64 v[14:15], v[173:174], s[10:11], v[175:176]
	s_delay_alu instid0(VALU_DEP_2) | instskip(NEXT) | instid1(VALU_DEP_2)
	v_add_f64 v[0:1], v[0:1], v[158:159]
	v_add_f64 v[2:3], v[14:15], v[2:3]
	v_fma_f64 v[14:15], v[189:190], s[8:9], -v[191:192]
	v_fma_f64 v[158:159], v[195:196], s[8:9], v[197:198]
	s_delay_alu instid0(VALU_DEP_4) | instskip(NEXT) | instid1(VALU_DEP_4)
	v_add_f64 v[0:1], v[140:141], v[0:1]
	v_add_f64 v[2:3], v[142:143], v[2:3]
	v_fma_f64 v[140:141], v[201:202], s[2:3], -v[203:204]
	v_fma_f64 v[142:143], v[207:208], s[2:3], v[209:210]
	s_delay_alu instid0(VALU_DEP_4) | instskip(NEXT) | instid1(VALU_DEP_4)
	v_add_f64 v[0:1], v[14:15], v[0:1]
	v_add_f64 v[2:3], v[158:159], v[2:3]
	s_delay_alu instid0(VALU_DEP_2) | instskip(SKIP_1) | instid1(VALU_DEP_3)
	v_add_f64 v[140:141], v[140:141], v[0:1]
	v_add_f64 v[0:1], v[16:17], v[64:65]
	;; [unrolled: 1-line block ×4, first 2 shown]
	s_delay_alu instid0(VALU_DEP_3) | instskip(NEXT) | instid1(VALU_DEP_2)
	v_add_f64 v[0:1], v[0:1], v[144:145]
	v_add_f64 v[2:3], v[2:3], v[146:147]
	s_delay_alu instid0(VALU_DEP_2) | instskip(NEXT) | instid1(VALU_DEP_2)
	v_add_f64 v[0:1], v[0:1], v[152:153]
	v_add_f64 v[2:3], v[2:3], v[154:155]
	s_delay_alu instid0(VALU_DEP_2) | instskip(NEXT) | instid1(VALU_DEP_2)
	v_add_f64 v[0:1], v[0:1], v[6:7]
	v_add_f64 v[2:3], v[2:3], v[8:9]
	s_delay_alu instid0(VALU_DEP_2) | instskip(NEXT) | instid1(VALU_DEP_2)
	v_add_f64 v[0:1], v[0:1], v[10:11]
	v_add_f64 v[2:3], v[2:3], v[12:13]
	s_delay_alu instid0(VALU_DEP_2) | instskip(NEXT) | instid1(VALU_DEP_2)
	v_add_f64 v[0:1], v[0:1], v[156:157]
	v_add_f64 v[2:3], v[2:3], v[4:5]
	s_delay_alu instid0(VALU_DEP_2) | instskip(NEXT) | instid1(VALU_DEP_2)
	v_add_f64 v[0:1], v[0:1], v[150:151]
	v_add_f64 v[2:3], v[2:3], v[148:149]
	s_delay_alu instid0(VALU_DEP_2) | instskip(NEXT) | instid1(VALU_DEP_2)
	v_add_f64 v[0:1], v[0:1], v[106:107]
	v_add_f64 v[2:3], v[2:3], v[104:105]
	s_delay_alu instid0(VALU_DEP_2)
	v_add_f64 v[104:105], v[0:1], v[22:23]
	scratch_load_b32 v0, off, off offset:8  ; 4-byte Folded Reload
	v_add_f64 v[106:107], v[2:3], v[20:21]
	s_waitcnt vmcnt(0)
	v_lshl_add_u32 v255, v247, 4, v0
	ds_store_b128 v255, v[108:111] offset:2912
	ds_store_b128 v255, v[112:115] offset:4368
	;; [unrolled: 1-line block ×10, first 2 shown]
	ds_store_b128 v255, v[104:107]
	s_waitcnt lgkmcnt(0)
	s_barrier
	buffer_gl0_inv
	s_and_saveexec_b32 s2, vcc_lo
	s_cbranch_execz .LBB0_13
; %bb.12:
	scratch_load_b32 v0, off, off offset:28 ; 4-byte Folded Reload
	s_waitcnt vmcnt(0)
	v_add_co_u32 v0, s1, s14, v0
	s_delay_alu instid0(VALU_DEP_1) | instskip(NEXT) | instid1(VALU_DEP_2)
	v_add_co_ci_u32_e64 v1, null, s15, 0, s1
	v_add_co_u32 v2, s1, 0x3000, v0
	s_delay_alu instid0(VALU_DEP_1) | instskip(SKIP_1) | instid1(VALU_DEP_1)
	v_add_co_ci_u32_e64 v3, s1, 0, v1, s1
	v_add_co_u32 v14, s1, 0x3e90, v0
	v_add_co_ci_u32_e64 v15, s1, 0, v1, s1
	global_load_b128 v[2:5], v[2:3], off offset:3728
	v_add_co_u32 v22, s1, 0x5000, v0
	s_clause 0x2
	global_load_b128 v[6:9], v[14:15], off offset:1232
	global_load_b128 v[10:13], v[14:15], off offset:2464
	;; [unrolled: 1-line block ×3, first 2 shown]
	v_add_co_ci_u32_e64 v23, s1, 0, v1, s1
	s_clause 0x1
	global_load_b128 v[18:21], v[22:23], off offset:464
	global_load_b128 v[64:67], v[22:23], off offset:1696
	ds_load_b128 v[144:147], v255
	ds_load_b128 v[148:151], v255 offset:1232
	v_add_co_u32 v168, s1, 0x6000, v0
	s_delay_alu instid0(VALU_DEP_1) | instskip(SKIP_1) | instid1(VALU_DEP_1)
	v_add_co_ci_u32_e64 v169, s1, 0, v1, s1
	v_add_co_u32 v0, s1, 0x7000, v0
	v_add_co_ci_u32_e64 v1, s1, 0, v1, s1
	s_waitcnt vmcnt(5) lgkmcnt(1)
	v_mul_f64 v[152:153], v[146:147], v[4:5]
	v_mul_f64 v[4:5], v[144:145], v[4:5]
	s_delay_alu instid0(VALU_DEP_2) | instskip(SKIP_3) | instid1(VALU_DEP_4)
	v_fma_f64 v[144:145], v[144:145], v[2:3], -v[152:153]
	s_waitcnt vmcnt(4) lgkmcnt(0)
	v_mul_f64 v[152:153], v[150:151], v[8:9]
	v_mul_f64 v[8:9], v[148:149], v[8:9]
	v_fma_f64 v[146:147], v[146:147], v[2:3], v[4:5]
	ds_load_b128 v[2:5], v255 offset:2464
	v_fma_f64 v[148:149], v[148:149], v[6:7], -v[152:153]
	v_fma_f64 v[150:151], v[150:151], v[6:7], v[8:9]
	ds_load_b128 v[6:9], v255 offset:3696
	s_waitcnt vmcnt(3) lgkmcnt(1)
	v_mul_f64 v[152:153], v[4:5], v[12:13]
	v_mul_f64 v[12:13], v[2:3], v[12:13]
	s_delay_alu instid0(VALU_DEP_2) | instskip(SKIP_3) | instid1(VALU_DEP_4)
	v_fma_f64 v[2:3], v[2:3], v[10:11], -v[152:153]
	s_waitcnt vmcnt(2) lgkmcnt(0)
	v_mul_f64 v[152:153], v[8:9], v[16:17]
	v_mul_f64 v[16:17], v[6:7], v[16:17]
	v_fma_f64 v[4:5], v[4:5], v[10:11], v[12:13]
	ds_load_b128 v[10:13], v255 offset:4928
	v_fma_f64 v[6:7], v[6:7], v[14:15], -v[152:153]
	v_fma_f64 v[8:9], v[8:9], v[14:15], v[16:17]
	ds_load_b128 v[14:17], v255 offset:6160
	s_waitcnt vmcnt(1) lgkmcnt(1)
	v_mul_f64 v[152:153], v[12:13], v[20:21]
	v_mul_f64 v[20:21], v[10:11], v[20:21]
	s_delay_alu instid0(VALU_DEP_2) | instskip(NEXT) | instid1(VALU_DEP_2)
	v_fma_f64 v[10:11], v[10:11], v[18:19], -v[152:153]
	v_fma_f64 v[12:13], v[12:13], v[18:19], v[20:21]
	global_load_b128 v[18:21], v[22:23], off offset:2928
	s_waitcnt vmcnt(1) lgkmcnt(0)
	v_mul_f64 v[22:23], v[16:17], v[66:67]
	v_mul_f64 v[66:67], v[14:15], v[66:67]
	s_delay_alu instid0(VALU_DEP_2) | instskip(NEXT) | instid1(VALU_DEP_2)
	v_fma_f64 v[14:15], v[14:15], v[64:65], -v[22:23]
	v_fma_f64 v[16:17], v[16:17], v[64:65], v[66:67]
	global_load_b128 v[64:67], v[168:169], off offset:64
	ds_load_b128 v[152:155], v255 offset:7392
	ds_load_b128 v[156:159], v255 offset:8624
	s_waitcnt vmcnt(1) lgkmcnt(1)
	v_mul_f64 v[22:23], v[154:155], v[20:21]
	v_mul_f64 v[160:161], v[152:153], v[20:21]
	s_delay_alu instid0(VALU_DEP_2) | instskip(NEXT) | instid1(VALU_DEP_2)
	v_fma_f64 v[20:21], v[152:153], v[18:19], -v[22:23]
	v_fma_f64 v[22:23], v[154:155], v[18:19], v[160:161]
	s_waitcnt vmcnt(0) lgkmcnt(0)
	v_mul_f64 v[18:19], v[158:159], v[66:67]
	v_mul_f64 v[66:67], v[156:157], v[66:67]
	s_delay_alu instid0(VALU_DEP_2) | instskip(NEXT) | instid1(VALU_DEP_2)
	v_fma_f64 v[152:153], v[156:157], v[64:65], -v[18:19]
	v_fma_f64 v[154:155], v[158:159], v[64:65], v[66:67]
	s_clause 0x1
	global_load_b128 v[64:67], v[168:169], off offset:1296
	global_load_b128 v[156:159], v[168:169], off offset:2528
	ds_load_b128 v[160:163], v255 offset:9856
	ds_load_b128 v[164:167], v255 offset:11088
	s_waitcnt vmcnt(1) lgkmcnt(1)
	v_mul_f64 v[18:19], v[162:163], v[66:67]
	v_mul_f64 v[66:67], v[160:161], v[66:67]
	s_delay_alu instid0(VALU_DEP_2) | instskip(NEXT) | instid1(VALU_DEP_2)
	v_fma_f64 v[160:161], v[160:161], v[64:65], -v[18:19]
	v_fma_f64 v[162:163], v[162:163], v[64:65], v[66:67]
	s_waitcnt vmcnt(0) lgkmcnt(0)
	v_mul_f64 v[18:19], v[166:167], v[158:159]
	v_mul_f64 v[66:67], v[164:165], v[158:159]
	s_delay_alu instid0(VALU_DEP_2) | instskip(NEXT) | instid1(VALU_DEP_2)
	v_fma_f64 v[64:65], v[164:165], v[156:157], -v[18:19]
	v_fma_f64 v[66:67], v[166:167], v[156:157], v[66:67]
	s_clause 0x1
	global_load_b128 v[156:159], v[168:169], off offset:3760
	global_load_b128 v[164:167], v[0:1], off offset:896
	ds_load_b128 v[171:174], v255 offset:12320
	ds_load_b128 v[175:178], v255 offset:13552
	s_waitcnt vmcnt(1) lgkmcnt(1)
	v_mul_f64 v[18:19], v[173:174], v[158:159]
	v_mul_f64 v[158:159], v[171:172], v[158:159]
	s_delay_alu instid0(VALU_DEP_2) | instskip(NEXT) | instid1(VALU_DEP_2)
	v_fma_f64 v[171:172], v[171:172], v[156:157], -v[18:19]
	v_fma_f64 v[173:174], v[173:174], v[156:157], v[158:159]
	s_waitcnt vmcnt(0) lgkmcnt(0)
	v_mul_f64 v[18:19], v[177:178], v[166:167]
	v_mul_f64 v[158:159], v[175:176], v[166:167]
	s_delay_alu instid0(VALU_DEP_2) | instskip(NEXT) | instid1(VALU_DEP_2)
	v_fma_f64 v[156:157], v[175:176], v[164:165], -v[18:19]
	v_fma_f64 v[158:159], v[177:178], v[164:165], v[158:159]
	global_load_b128 v[164:167], v[0:1], off offset:2128
	ds_load_b128 v[175:178], v255 offset:14784
	s_waitcnt vmcnt(0) lgkmcnt(0)
	v_mul_f64 v[0:1], v[177:178], v[166:167]
	v_mul_f64 v[18:19], v[175:176], v[166:167]
	s_delay_alu instid0(VALU_DEP_2) | instskip(NEXT) | instid1(VALU_DEP_2)
	v_fma_f64 v[166:167], v[175:176], v[164:165], -v[0:1]
	v_fma_f64 v[168:169], v[177:178], v[164:165], v[18:19]
	ds_store_b128 v255, v[144:147]
	ds_store_b128 v255, v[148:151] offset:1232
	ds_store_b128 v255, v[2:5] offset:2464
	;; [unrolled: 1-line block ×12, first 2 shown]
.LBB0_13:
	s_or_b32 exec_lo, exec_lo, s2
	s_waitcnt lgkmcnt(0)
	s_barrier
	buffer_gl0_inv
	s_and_saveexec_b32 s1, vcc_lo
	s_cbranch_execz .LBB0_15
; %bb.14:
	ds_load_b128 v[104:107], v255
	ds_load_b128 v[140:143], v255 offset:1232
	ds_load_b128 v[108:111], v255 offset:2464
	;; [unrolled: 1-line block ×12, first 2 shown]
.LBB0_15:
	s_or_b32 exec_lo, exec_lo, s1
	s_waitcnt lgkmcnt(0)
	v_add_f64 v[156:157], v[142:143], -v[94:95]
	s_mov_b32 s16, 0x4267c47c
	s_mov_b32 s17, 0xbfddbe06
	v_add_f64 v[175:176], v[140:141], v[92:93]
	v_add_f64 v[158:159], v[110:111], -v[98:99]
	v_add_f64 v[227:228], v[110:111], v[98:99]
	s_mov_b32 s2, 0xe00740e9
	s_mov_b32 s8, 0x42a4c3d2
	;; [unrolled: 1-line block ×6, first 2 shown]
	v_add_f64 v[171:172], v[108:109], v[96:97]
	v_add_f64 v[225:226], v[142:143], v[94:95]
	v_add_f64 v[211:212], v[140:141], -v[92:93]
	v_add_f64 v[179:180], v[108:109], -v[96:97]
	;; [unrolled: 1-line block ×3, first 2 shown]
	s_mov_b32 s20, 0x66966769
	s_mov_b32 s21, 0xbfefc445
	v_add_f64 v[183:184], v[112:113], v[100:101]
	s_mov_b32 s18, 0xebaa3ed8
	s_mov_b32 s19, 0x3fbedb7d
	v_add_f64 v[233:234], v[114:115], v[102:103]
	v_add_f64 v[187:188], v[112:113], -v[100:101]
	v_add_f64 v[237:238], v[122:123], -v[118:119]
	s_mov_b32 s24, 0x2ef20147
	s_mov_b32 s25, 0xbfedeba7
	v_add_f64 v[191:192], v[120:121], v[116:117]
	s_mov_b32 s22, 0xb2365da1
	s_mov_b32 s23, 0xbfd6b1d8
	v_add_f64 v[239:240], v[122:123], v[118:119]
	v_add_f64 v[199:200], v[120:121], -v[116:117]
	v_add_f64 v[241:242], v[138:139], -v[126:127]
	s_mov_b32 s28, 0x24c2f84
	s_mov_b32 s29, 0xbfe5384d
	v_add_f64 v[195:196], v[136:137], v[124:125]
	s_mov_b32 s26, 0xd0032e0c
	s_mov_b32 s27, 0xbfe7f3cc
	v_mul_f64 v[0:1], v[156:157], s[16:17]
	v_add_f64 v[248:249], v[138:139], v[126:127]
	v_add_f64 v[207:208], v[136:137], -v[124:125]
	v_add_f64 v[250:251], v[134:135], -v[130:131]
	v_mul_f64 v[2:3], v[158:159], s[8:9]
	v_mul_f64 v[4:5], v[227:228], s[10:11]
	s_mov_b32 s34, 0x4bc48dbf
	s_mov_b32 s35, 0xbfcea1e5
	v_add_f64 v[203:204], v[132:133], v[128:129]
	s_mov_b32 s30, 0x93053d00
	s_mov_b32 s31, 0xbfef11f4
	v_add_f64 v[252:253], v[134:135], v[130:131]
	v_add_f64 v[215:216], v[132:133], -v[128:129]
	v_mul_f64 v[173:174], v[156:157], s[8:9]
	v_mul_f64 v[205:206], v[225:226], s[10:11]
	s_mov_b32 s41, 0x3fe5384d
	s_mov_b32 s40, s28
	;; [unrolled: 1-line block ×6, first 2 shown]
	v_mul_f64 v[14:15], v[156:157], s[20:21]
	v_mul_f64 v[20:21], v[225:226], s[18:19]
	s_mov_b32 s43, 0x3fedeba7
	s_mov_b32 s42, s24
	v_mul_f64 v[22:23], v[156:157], s[24:25]
	v_mul_f64 v[168:169], v[158:159], s[40:41]
	;; [unrolled: 1-line block ×8, first 2 shown]
	s_mov_b32 s45, 0x3fcea1e5
	s_mov_b32 s44, s34
	;; [unrolled: 1-line block ×3, first 2 shown]
	v_mul_f64 v[193:194], v[241:242], s[44:45]
	s_mov_b32 s46, s8
	scratch_store_b64 off, v[0:1], off offset:160 ; 8-byte Folded Spill
	v_fma_f64 v[0:1], v[175:176], s[2:3], -v[0:1]
	v_mul_f64 v[213:214], v[248:249], s[30:31]
	v_mul_f64 v[209:210], v[250:251], s[46:47]
	s_clause 0x1
	scratch_store_b64 off, v[2:3], off offset:152
	scratch_store_b64 off, v[4:5], off offset:168
	v_fma_f64 v[2:3], v[171:172], s[10:11], -v[2:3]
	v_fma_f64 v[4:5], v[179:180], s[8:9], v[4:5]
	v_mul_f64 v[219:220], v[156:157], s[28:29]
	v_mul_f64 v[64:65], v[158:159], s[38:39]
	;; [unrolled: 1-line block ×9, first 2 shown]
	v_add_f64 v[0:1], v[104:105], v[0:1]
	v_fma_f64 v[156:157], v[175:176], s[30:31], -v[243:244]
	s_delay_alu instid0(VALU_DEP_2) | instskip(SKIP_2) | instid1(VALU_DEP_4)
	v_add_f64 v[0:1], v[2:3], v[0:1]
	v_mul_f64 v[2:3], v[225:226], s[2:3]
	v_fma_f64 v[225:226], v[179:180], s[36:37], v[229:230]
	v_add_f64 v[156:157], v[104:105], v[156:157]
	scratch_store_b64 off, v[2:3], off offset:232 ; 8-byte Folded Spill
	v_fma_f64 v[2:3], v[211:212], s[16:17], v[2:3]
	s_delay_alu instid0(VALU_DEP_1) | instskip(NEXT) | instid1(VALU_DEP_1)
	v_add_f64 v[2:3], v[106:107], v[2:3]
	v_add_f64 v[2:3], v[4:5], v[2:3]
	v_mul_f64 v[4:5], v[231:232], s[20:21]
	scratch_store_b64 off, v[4:5], off offset:176 ; 8-byte Folded Spill
	v_fma_f64 v[4:5], v[183:184], s[18:19], -v[4:5]
	s_delay_alu instid0(VALU_DEP_1) | instskip(SKIP_3) | instid1(VALU_DEP_1)
	v_add_f64 v[0:1], v[4:5], v[0:1]
	v_mul_f64 v[4:5], v[233:234], s[18:19]
	scratch_store_b64 off, v[4:5], off offset:184 ; 8-byte Folded Spill
	v_fma_f64 v[4:5], v[187:188], s[20:21], v[4:5]
	v_add_f64 v[2:3], v[4:5], v[2:3]
	v_mul_f64 v[4:5], v[237:238], s[24:25]
	scratch_store_b64 off, v[4:5], off offset:192 ; 8-byte Folded Spill
	v_fma_f64 v[4:5], v[191:192], s[22:23], -v[4:5]
	s_delay_alu instid0(VALU_DEP_1) | instskip(SKIP_3) | instid1(VALU_DEP_1)
	v_add_f64 v[0:1], v[4:5], v[0:1]
	v_mul_f64 v[4:5], v[239:240], s[22:23]
	scratch_store_b64 off, v[4:5], off offset:208 ; 8-byte Folded Spill
	v_fma_f64 v[4:5], v[199:200], s[24:25], v[4:5]
	;; [unrolled: 9-line block ×3, first 2 shown]
	v_add_f64 v[2:3], v[4:5], v[2:3]
	v_mul_f64 v[4:5], v[250:251], s[34:35]
	scratch_store_b64 off, v[4:5], off offset:216 ; 8-byte Folded Spill
	v_fma_f64 v[4:5], v[203:204], s[30:31], -v[4:5]
	s_delay_alu instid0(VALU_DEP_1)
	v_add_f64 v[144:145], v[4:5], v[0:1]
	v_mul_f64 v[0:1], v[252:253], s[30:31]
	v_mul_f64 v[4:5], v[227:228], s[22:23]
	s_clause 0x1
	scratch_store_b64 off, v[0:1], off offset:240
	scratch_store_b64 off, v[4:5], off offset:264
	v_fma_f64 v[0:1], v[215:216], s[34:35], v[0:1]
	v_fma_f64 v[4:5], v[179:180], s[24:25], v[4:5]
	s_delay_alu instid0(VALU_DEP_2) | instskip(SKIP_2) | instid1(VALU_DEP_2)
	v_add_f64 v[146:147], v[0:1], v[2:3]
	v_fma_f64 v[0:1], v[175:176], s[10:11], -v[173:174]
	v_mul_f64 v[2:3], v[158:159], s[24:25]
	v_add_f64 v[0:1], v[104:105], v[0:1]
	scratch_store_b64 off, v[2:3], off offset:248 ; 8-byte Folded Spill
	v_fma_f64 v[2:3], v[171:172], s[22:23], -v[2:3]
	s_delay_alu instid0(VALU_DEP_1) | instskip(SKIP_1) | instid1(VALU_DEP_1)
	v_add_f64 v[0:1], v[2:3], v[0:1]
	v_fma_f64 v[2:3], v[211:212], s[8:9], v[205:206]
	v_add_f64 v[2:3], v[106:107], v[2:3]
	s_delay_alu instid0(VALU_DEP_1) | instskip(SKIP_3) | instid1(VALU_DEP_1)
	v_add_f64 v[2:3], v[4:5], v[2:3]
	v_mul_f64 v[4:5], v[231:232], s[34:35]
	scratch_store_b64 off, v[4:5], off offset:256 ; 8-byte Folded Spill
	v_fma_f64 v[4:5], v[183:184], s[30:31], -v[4:5]
	v_add_f64 v[0:1], v[4:5], v[0:1]
	v_mul_f64 v[4:5], v[233:234], s[30:31]
	scratch_store_b64 off, v[4:5], off offset:280 ; 8-byte Folded Spill
	v_fma_f64 v[4:5], v[187:188], s[34:35], v[4:5]
	s_delay_alu instid0(VALU_DEP_1) | instskip(SKIP_3) | instid1(VALU_DEP_1)
	v_add_f64 v[2:3], v[4:5], v[2:3]
	v_mul_f64 v[4:5], v[237:238], s[40:41]
	scratch_store_b64 off, v[4:5], off offset:272 ; 8-byte Folded Spill
	v_fma_f64 v[4:5], v[191:192], s[26:27], -v[4:5]
	v_add_f64 v[0:1], v[4:5], v[0:1]
	v_mul_f64 v[4:5], v[239:240], s[26:27]
	scratch_store_b64 off, v[4:5], off offset:312 ; 8-byte Folded Spill
	v_fma_f64 v[4:5], v[199:200], s[40:41], v[4:5]
	;; [unrolled: 9-line block ×3, first 2 shown]
	s_delay_alu instid0(VALU_DEP_1) | instskip(SKIP_3) | instid1(VALU_DEP_1)
	v_add_f64 v[2:3], v[4:5], v[2:3]
	v_mul_f64 v[4:5], v[250:251], s[36:37]
	scratch_store_b64 off, v[4:5], off offset:296 ; 8-byte Folded Spill
	v_fma_f64 v[4:5], v[203:204], s[2:3], -v[4:5]
	v_add_f64 v[148:149], v[4:5], v[0:1]
	v_mul_f64 v[0:1], v[252:253], s[2:3]
	v_mul_f64 v[4:5], v[227:228], s[30:31]
	scratch_store_b64 off, v[0:1], off offset:328 ; 8-byte Folded Spill
	v_fma_f64 v[0:1], v[215:216], s[36:37], v[0:1]
	scratch_store_b64 off, v[4:5], off offset:344 ; 8-byte Folded Spill
	v_fma_f64 v[4:5], v[179:180], s[34:35], v[4:5]
	v_add_f64 v[150:151], v[0:1], v[2:3]
	v_fma_f64 v[0:1], v[175:176], s[18:19], -v[14:15]
	v_mul_f64 v[2:3], v[158:159], s[34:35]
	s_delay_alu instid0(VALU_DEP_2) | instskip(SKIP_2) | instid1(VALU_DEP_1)
	v_add_f64 v[0:1], v[104:105], v[0:1]
	scratch_store_b64 off, v[2:3], off offset:304 ; 8-byte Folded Spill
	v_fma_f64 v[2:3], v[171:172], s[30:31], -v[2:3]
	v_add_f64 v[0:1], v[2:3], v[0:1]
	v_fma_f64 v[2:3], v[211:212], s[20:21], v[20:21]
	s_delay_alu instid0(VALU_DEP_1) | instskip(NEXT) | instid1(VALU_DEP_1)
	v_add_f64 v[2:3], v[106:107], v[2:3]
	v_add_f64 v[2:3], v[4:5], v[2:3]
	v_mul_f64 v[4:5], v[231:232], s[42:43]
	scratch_store_b64 off, v[4:5], off offset:336 ; 8-byte Folded Spill
	v_fma_f64 v[4:5], v[183:184], s[22:23], -v[4:5]
	s_delay_alu instid0(VALU_DEP_1) | instskip(SKIP_3) | instid1(VALU_DEP_1)
	v_add_f64 v[0:1], v[4:5], v[0:1]
	v_mul_f64 v[4:5], v[233:234], s[22:23]
	scratch_store_b64 off, v[4:5], off offset:368 ; 8-byte Folded Spill
	v_fma_f64 v[4:5], v[187:188], s[42:43], v[4:5]
	v_add_f64 v[2:3], v[4:5], v[2:3]
	v_mul_f64 v[4:5], v[237:238], s[36:37]
	scratch_store_b64 off, v[4:5], off offset:352 ; 8-byte Folded Spill
	v_fma_f64 v[4:5], v[191:192], s[2:3], -v[4:5]
	s_delay_alu instid0(VALU_DEP_1) | instskip(SKIP_3) | instid1(VALU_DEP_1)
	v_add_f64 v[0:1], v[4:5], v[0:1]
	v_mul_f64 v[4:5], v[239:240], s[2:3]
	scratch_store_b64 off, v[4:5], off offset:376 ; 8-byte Folded Spill
	v_fma_f64 v[4:5], v[199:200], s[36:37], v[4:5]
	;; [unrolled: 9-line block ×3, first 2 shown]
	v_add_f64 v[2:3], v[4:5], v[2:3]
	v_mul_f64 v[4:5], v[250:251], s[28:29]
	scratch_store_b64 off, v[4:5], off offset:384 ; 8-byte Folded Spill
	v_fma_f64 v[4:5], v[203:204], s[26:27], -v[4:5]
	s_waitcnt_vscnt null, 0x0
	s_barrier
	buffer_gl0_inv
	v_add_f64 v[152:153], v[4:5], v[0:1]
	v_fma_f64 v[0:1], v[215:216], s[28:29], v[181:182]
	v_fma_f64 v[4:5], v[179:180], s[40:41], v[189:190]
	s_delay_alu instid0(VALU_DEP_2) | instskip(SKIP_2) | instid1(VALU_DEP_2)
	v_add_f64 v[154:155], v[0:1], v[2:3]
	v_fma_f64 v[0:1], v[175:176], s[22:23], -v[22:23]
	v_fma_f64 v[2:3], v[171:172], s[26:27], -v[168:169]
	v_add_f64 v[0:1], v[104:105], v[0:1]
	s_delay_alu instid0(VALU_DEP_1) | instskip(SKIP_1) | instid1(VALU_DEP_1)
	v_add_f64 v[0:1], v[2:3], v[0:1]
	v_fma_f64 v[2:3], v[211:212], s[24:25], v[217:218]
	v_add_f64 v[2:3], v[106:107], v[2:3]
	s_delay_alu instid0(VALU_DEP_1) | instskip(SKIP_1) | instid1(VALU_DEP_1)
	v_add_f64 v[2:3], v[4:5], v[2:3]
	v_fma_f64 v[4:5], v[183:184], s[2:3], -v[177:178]
	v_add_f64 v[0:1], v[4:5], v[0:1]
	v_fma_f64 v[4:5], v[187:188], s[36:37], v[197:198]
	s_delay_alu instid0(VALU_DEP_1) | instskip(SKIP_1) | instid1(VALU_DEP_1)
	v_add_f64 v[2:3], v[4:5], v[2:3]
	v_fma_f64 v[4:5], v[191:192], s[18:19], -v[185:186]
	v_add_f64 v[0:1], v[4:5], v[0:1]
	v_fma_f64 v[4:5], v[199:200], s[20:21], v[201:202]
	;; [unrolled: 5-line block ×3, first 2 shown]
	s_delay_alu instid0(VALU_DEP_1) | instskip(SKIP_1) | instid1(VALU_DEP_1)
	v_add_f64 v[2:3], v[4:5], v[2:3]
	v_fma_f64 v[4:5], v[203:204], s[10:11], -v[209:210]
	v_add_f64 v[160:161], v[4:5], v[0:1]
	v_mul_f64 v[0:1], v[252:253], s[10:11]
	s_delay_alu instid0(VALU_DEP_1) | instskip(NEXT) | instid1(VALU_DEP_1)
	v_fma_f64 v[4:5], v[215:216], s[46:47], v[0:1]
	v_add_f64 v[162:163], v[4:5], v[2:3]
	v_fma_f64 v[2:3], v[175:176], s[26:27], -v[219:220]
	v_fma_f64 v[4:5], v[171:172], s[18:19], -v[64:65]
	s_delay_alu instid0(VALU_DEP_2) | instskip(NEXT) | instid1(VALU_DEP_1)
	v_add_f64 v[2:3], v[104:105], v[2:3]
	v_add_f64 v[2:3], v[4:5], v[2:3]
	v_fma_f64 v[4:5], v[211:212], s[28:29], v[221:222]
	s_delay_alu instid0(VALU_DEP_1) | instskip(SKIP_1) | instid1(VALU_DEP_1)
	v_add_f64 v[6:7], v[106:107], v[4:5]
	v_mul_f64 v[4:5], v[227:228], s[18:19]
	v_fma_f64 v[8:9], v[179:180], s[38:39], v[4:5]
	s_delay_alu instid0(VALU_DEP_1) | instskip(SKIP_1) | instid1(VALU_DEP_1)
	v_add_f64 v[8:9], v[8:9], v[6:7]
	v_fma_f64 v[6:7], v[183:184], s[10:11], -v[66:67]
	v_add_f64 v[10:11], v[6:7], v[2:3]
	v_mul_f64 v[6:7], v[233:234], s[10:11]
	v_mul_f64 v[233:234], v[241:242], s[24:25]
	s_delay_alu instid0(VALU_DEP_2) | instskip(NEXT) | instid1(VALU_DEP_1)
	v_fma_f64 v[2:3], v[187:188], s[8:9], v[6:7]
	v_add_f64 v[8:9], v[2:3], v[8:9]
	v_mul_f64 v[2:3], v[237:238], s[44:45]
	s_delay_alu instid0(VALU_DEP_1) | instskip(NEXT) | instid1(VALU_DEP_1)
	v_fma_f64 v[12:13], v[191:192], s[30:31], -v[2:3]
	v_add_f64 v[12:13], v[12:13], v[10:11]
	v_mul_f64 v[10:11], v[239:240], s[30:31]
	v_mul_f64 v[239:240], v[239:240], s[10:11]
	s_delay_alu instid0(VALU_DEP_2) | instskip(NEXT) | instid1(VALU_DEP_1)
	v_fma_f64 v[16:17], v[199:200], s[44:45], v[10:11]
	v_add_f64 v[18:19], v[16:17], v[8:9]
	v_mul_f64 v[8:9], v[241:242], s[36:37]
	v_mul_f64 v[241:242], v[248:249], s[22:23]
	s_delay_alu instid0(VALU_DEP_2) | instskip(NEXT) | instid1(VALU_DEP_1)
	v_fma_f64 v[16:17], v[195:196], s[2:3], -v[8:9]
	v_add_f64 v[164:165], v[16:17], v[12:13]
	v_mul_f64 v[16:17], v[248:249], s[2:3]
	s_delay_alu instid0(VALU_DEP_1) | instskip(NEXT) | instid1(VALU_DEP_1)
	v_fma_f64 v[12:13], v[207:208], s[36:37], v[16:17]
	v_add_f64 v[166:167], v[12:13], v[18:19]
	v_mul_f64 v[12:13], v[250:251], s[24:25]
	s_delay_alu instid0(VALU_DEP_1) | instskip(NEXT) | instid1(VALU_DEP_1)
	v_fma_f64 v[18:19], v[203:204], s[22:23], -v[12:13]
	v_add_f64 v[164:165], v[18:19], v[164:165]
	v_mul_f64 v[18:19], v[252:253], s[22:23]
	s_delay_alu instid0(VALU_DEP_1) | instskip(NEXT) | instid1(VALU_DEP_1)
	v_fma_f64 v[223:224], v[215:216], s[24:25], v[18:19]
	v_add_f64 v[166:167], v[223:224], v[166:167]
	v_mul_f64 v[223:224], v[158:159], s[36:37]
	s_delay_alu instid0(VALU_DEP_1) | instskip(NEXT) | instid1(VALU_DEP_1)
	v_fma_f64 v[158:159], v[171:172], s[2:3], -v[223:224]
	v_add_f64 v[156:157], v[158:159], v[156:157]
	v_fma_f64 v[158:159], v[211:212], s[34:35], v[245:246]
	s_delay_alu instid0(VALU_DEP_1) | instskip(NEXT) | instid1(VALU_DEP_1)
	v_add_f64 v[158:159], v[106:107], v[158:159]
	v_add_f64 v[158:159], v[225:226], v[158:159]
	v_mul_f64 v[225:226], v[231:232], s[28:29]
	v_mul_f64 v[231:232], v[237:238], s[46:47]
	;; [unrolled: 1-line block ×3, first 2 shown]
	s_delay_alu instid0(VALU_DEP_3) | instskip(NEXT) | instid1(VALU_DEP_1)
	v_fma_f64 v[227:228], v[183:184], s[26:27], -v[225:226]
	v_add_f64 v[156:157], v[227:228], v[156:157]
	v_fma_f64 v[227:228], v[187:188], s[28:29], v[235:236]
	s_delay_alu instid0(VALU_DEP_1) | instskip(SKIP_1) | instid1(VALU_DEP_1)
	v_add_f64 v[158:159], v[227:228], v[158:159]
	v_fma_f64 v[227:228], v[191:192], s[10:11], -v[231:232]
	v_add_f64 v[156:157], v[227:228], v[156:157]
	v_fma_f64 v[227:228], v[199:200], s[46:47], v[239:240]
	s_delay_alu instid0(VALU_DEP_1) | instskip(SKIP_1) | instid1(VALU_DEP_1)
	v_add_f64 v[158:159], v[227:228], v[158:159]
	;; [unrolled: 5-line block ×3, first 2 shown]
	v_mul_f64 v[227:228], v[250:251], s[38:39]
	v_fma_f64 v[248:249], v[203:204], s[18:19], -v[227:228]
	s_delay_alu instid0(VALU_DEP_1) | instskip(SKIP_1) | instid1(VALU_DEP_1)
	v_add_f64 v[156:157], v[248:249], v[156:157]
	v_fma_f64 v[248:249], v[215:216], s[38:39], v[237:238]
	v_add_f64 v[158:159], v[248:249], v[158:159]
	s_and_saveexec_b32 s1, vcc_lo
	s_cbranch_execz .LBB0_17
; %bb.16:
	v_add_f64 v[140:141], v[104:105], v[140:141]
	v_add_f64 v[142:143], v[106:107], v[142:143]
	s_delay_alu instid0(VALU_DEP_2) | instskip(NEXT) | instid1(VALU_DEP_2)
	v_add_f64 v[108:109], v[140:141], v[108:109]
	v_add_f64 v[110:111], v[142:143], v[110:111]
	s_delay_alu instid0(VALU_DEP_2) | instskip(NEXT) | instid1(VALU_DEP_2)
	v_add_f64 v[108:109], v[108:109], v[112:113]
	v_add_f64 v[110:111], v[110:111], v[114:115]
	v_mul_f64 v[114:115], v[211:212], s[16:17]
	v_mul_f64 v[112:113], v[175:176], s[26:27]
	s_delay_alu instid0(VALU_DEP_4) | instskip(NEXT) | instid1(VALU_DEP_4)
	v_add_f64 v[108:109], v[108:109], v[120:121]
	v_add_f64 v[110:111], v[110:111], v[122:123]
	v_mul_f64 v[122:123], v[199:200], s[46:47]
	s_delay_alu instid0(VALU_DEP_4) | instskip(NEXT) | instid1(VALU_DEP_4)
	v_add_f64 v[112:113], v[112:113], v[219:220]
	v_add_f64 v[108:109], v[108:109], v[136:137]
	s_delay_alu instid0(VALU_DEP_4) | instskip(NEXT) | instid1(VALU_DEP_4)
	v_add_f64 v[110:111], v[110:111], v[138:139]
	v_add_f64 v[122:123], v[239:240], -v[122:123]
	s_delay_alu instid0(VALU_DEP_4) | instskip(NEXT) | instid1(VALU_DEP_4)
	v_add_f64 v[112:113], v[104:105], v[112:113]
	v_add_f64 v[108:109], v[108:109], v[132:133]
	s_delay_alu instid0(VALU_DEP_4) | instskip(NEXT) | instid1(VALU_DEP_2)
	v_add_f64 v[110:111], v[110:111], v[134:135]
	v_add_f64 v[108:109], v[108:109], v[128:129]
	s_delay_alu instid0(VALU_DEP_2)
	v_add_f64 v[110:111], v[110:111], v[130:131]
	scratch_load_b64 v[128:129], off, off offset:320 ; 8-byte Folded Reload
	v_add_f64 v[108:109], v[108:109], v[124:125]
	v_add_f64 v[110:111], v[110:111], v[126:127]
	v_mul_f64 v[124:125], v[191:192], s[10:11]
	v_mul_f64 v[126:127], v[207:208], s[24:25]
	s_delay_alu instid0(VALU_DEP_4)
	v_add_f64 v[108:109], v[108:109], v[116:117]
	scratch_load_b64 v[116:117], off, off offset:232 ; 8-byte Folded Reload
	v_add_f64 v[110:111], v[110:111], v[118:119]
	scratch_load_b64 v[118:119], off, off offset:160 ; 8-byte Folded Reload
	v_add_f64 v[124:125], v[124:125], v[231:232]
	v_add_f64 v[126:127], v[241:242], -v[126:127]
	v_add_f64 v[100:101], v[108:109], v[100:101]
	v_mul_f64 v[108:109], v[175:176], s[22:23]
	v_add_f64 v[102:103], v[110:111], v[102:103]
	v_mul_f64 v[110:111], v[175:176], s[10:11]
	s_delay_alu instid0(VALU_DEP_4) | instskip(NEXT) | instid1(VALU_DEP_4)
	v_add_f64 v[96:97], v[100:101], v[96:97]
	v_add_f64 v[22:23], v[108:109], v[22:23]
	v_mul_f64 v[108:109], v[211:212], s[20:21]
	v_add_f64 v[98:99], v[102:103], v[98:99]
	v_mul_f64 v[100:101], v[211:212], s[28:29]
	v_mul_f64 v[102:103], v[211:212], s[24:25]
	v_add_f64 v[110:111], v[110:111], v[173:174]
	v_add_f64 v[92:93], v[96:97], v[92:93]
	v_mul_f64 v[96:97], v[211:212], s[34:35]
	v_add_f64 v[20:21], v[20:21], -v[108:109]
	v_mul_f64 v[108:109], v[175:176], s[18:19]
	v_add_f64 v[94:95], v[98:99], v[94:95]
	v_mul_f64 v[98:99], v[175:176], s[30:31]
	v_add_f64 v[100:101], v[221:222], -v[100:101]
	v_add_f64 v[102:103], v[217:218], -v[102:103]
	;; [unrolled: 1-line block ×3, first 2 shown]
	v_add_f64 v[14:15], v[108:109], v[14:15]
	v_mul_f64 v[108:109], v[211:212], s[8:9]
	v_add_f64 v[98:99], v[98:99], v[243:244]
	v_add_f64 v[120:121], v[106:107], v[102:103]
	;; [unrolled: 1-line block ×4, first 2 shown]
	v_add_f64 v[108:109], v[205:206], -v[108:109]
	v_add_f64 v[98:99], v[104:105], v[98:99]
	s_delay_alu instid0(VALU_DEP_2) | instskip(SKIP_3) | instid1(VALU_DEP_1)
	v_add_f64 v[102:103], v[106:107], v[108:109]
	v_add_f64 v[108:109], v[104:105], v[110:111]
	;; [unrolled: 1-line block ×3, first 2 shown]
	v_mul_f64 v[22:23], v[171:172], s[2:3]
	v_add_f64 v[22:23], v[22:23], v[223:224]
	s_delay_alu instid0(VALU_DEP_1) | instskip(SKIP_4) | instid1(VALU_DEP_3)
	v_add_f64 v[22:23], v[22:23], v[98:99]
	v_mul_f64 v[98:99], v[215:216], s[38:39]
	s_waitcnt vmcnt(1)
	v_add_f64 v[114:115], v[116:117], -v[114:115]
	v_mul_f64 v[116:117], v[175:176], s[2:3]
	v_add_f64 v[98:99], v[237:238], -v[98:99]
	s_delay_alu instid0(VALU_DEP_3) | instskip(SKIP_1) | instid1(VALU_DEP_3)
	v_add_f64 v[114:115], v[106:107], v[114:115]
	s_waitcnt vmcnt(0)
	v_add_f64 v[116:117], v[116:117], v[118:119]
	v_add_f64 v[118:119], v[106:107], v[100:101]
	;; [unrolled: 1-line block ×3, first 2 shown]
	v_mul_f64 v[20:21], v[179:180], s[36:37]
	v_mul_f64 v[106:107], v[183:184], s[26:27]
	v_add_f64 v[116:117], v[104:105], v[116:117]
	v_mul_f64 v[104:105], v[187:188], s[28:29]
	s_delay_alu instid0(VALU_DEP_4) | instskip(NEXT) | instid1(VALU_DEP_4)
	v_add_f64 v[20:21], v[229:230], -v[20:21]
	v_add_f64 v[106:107], v[106:107], v[225:226]
	s_delay_alu instid0(VALU_DEP_3) | instskip(NEXT) | instid1(VALU_DEP_3)
	v_add_f64 v[104:105], v[235:236], -v[104:105]
	v_add_f64 v[20:21], v[20:21], v[96:97]
	v_mul_f64 v[96:97], v[195:196], s[22:23]
	s_delay_alu instid0(VALU_DEP_4)
	v_add_f64 v[22:23], v[106:107], v[22:23]
	scratch_load_b64 v[106:107], off, off offset:280 ; 8-byte Folded Reload
	v_add_f64 v[20:21], v[104:105], v[20:21]
	v_add_f64 v[96:97], v[96:97], v[233:234]
	;; [unrolled: 1-line block ×3, first 2 shown]
	v_mul_f64 v[104:105], v[203:204], s[18:19]
	scratch_load_b64 v[124:125], off, off offset:312 ; 8-byte Folded Reload
	v_add_f64 v[20:21], v[122:123], v[20:21]
	v_add_f64 v[96:97], v[96:97], v[22:23]
	;; [unrolled: 1-line block ×3, first 2 shown]
	s_delay_alu instid0(VALU_DEP_3)
	v_add_f64 v[20:21], v[126:127], v[20:21]
	s_clause 0x1
	scratch_load_b64 v[126:127], off, off offset:272
	scratch_load_b64 v[122:123], off, off offset:256
	v_add_f64 v[22:23], v[98:99], v[20:21]
	scratch_load_b64 v[98:99], off, off offset:264 ; 8-byte Folded Reload
	v_add_f64 v[20:21], v[104:105], v[96:97]
	scratch_load_b64 v[104:105], off, off offset:248 ; 8-byte Folded Reload
	v_mul_f64 v[96:97], v[179:180], s[24:25]
	s_waitcnt vmcnt(1)
	s_delay_alu instid0(VALU_DEP_1) | instskip(SKIP_1) | instid1(VALU_DEP_2)
	v_add_f64 v[96:97], v[98:99], -v[96:97]
	v_mul_f64 v[98:99], v[171:172], s[22:23]
	v_add_f64 v[96:97], v[96:97], v[102:103]
	s_waitcnt vmcnt(0)
	s_delay_alu instid0(VALU_DEP_2) | instskip(SKIP_2) | instid1(VALU_DEP_3)
	v_add_f64 v[98:99], v[98:99], v[104:105]
	v_mul_f64 v[104:105], v[187:188], s[34:35]
	v_mul_f64 v[102:103], v[195:196], s[18:19]
	v_add_f64 v[98:99], v[98:99], v[108:109]
	scratch_load_b64 v[108:109], off, off offset:288 ; 8-byte Folded Reload
	v_add_f64 v[104:105], v[106:107], -v[104:105]
	v_mul_f64 v[106:107], v[183:184], s[30:31]
	s_delay_alu instid0(VALU_DEP_2) | instskip(NEXT) | instid1(VALU_DEP_2)
	v_add_f64 v[96:97], v[104:105], v[96:97]
	v_add_f64 v[106:107], v[106:107], v[122:123]
	v_mul_f64 v[122:123], v[199:200], s[40:41]
	v_mul_f64 v[104:105], v[215:216], s[36:37]
	s_delay_alu instid0(VALU_DEP_3) | instskip(NEXT) | instid1(VALU_DEP_3)
	v_add_f64 v[98:99], v[106:107], v[98:99]
	v_add_f64 v[122:123], v[124:125], -v[122:123]
	v_mul_f64 v[124:125], v[191:192], s[26:27]
	scratch_load_b64 v[106:107], off, off offset:328 ; 8-byte Folded Reload
	v_add_f64 v[96:97], v[122:123], v[96:97]
	v_add_f64 v[124:125], v[124:125], v[126:127]
	v_mul_f64 v[126:127], v[207:208], s[38:39]
	s_delay_alu instid0(VALU_DEP_2) | instskip(NEXT) | instid1(VALU_DEP_2)
	v_add_f64 v[98:99], v[124:125], v[98:99]
	v_add_f64 v[126:127], v[128:129], -v[126:127]
	s_clause 0x1
	scratch_load_b64 v[124:125], off, off offset:376
	scratch_load_b64 v[128:129], off, off offset:392
	v_add_f64 v[96:97], v[126:127], v[96:97]
	scratch_load_b64 v[126:127], off, off offset:352 ; 8-byte Folded Reload
	s_waitcnt vmcnt(4)
	v_add_f64 v[102:103], v[102:103], v[108:109]
	scratch_load_b64 v[108:109], off, off offset:296 ; 8-byte Folded Reload
	v_add_f64 v[102:103], v[102:103], v[98:99]
	s_waitcnt vmcnt(4)
	v_add_f64 v[104:105], v[106:107], -v[104:105]
	v_mul_f64 v[106:107], v[203:204], s[2:3]
	s_delay_alu instid0(VALU_DEP_2)
	v_add_f64 v[98:99], v[104:105], v[96:97]
	scratch_load_b64 v[104:105], off, off offset:344 ; 8-byte Folded Reload
	s_waitcnt vmcnt(1)
	v_add_f64 v[106:107], v[106:107], v[108:109]
	s_clause 0x1
	scratch_load_b64 v[108:109], off, off offset:368
	scratch_load_b64 v[122:123], off, off offset:336
	v_add_f64 v[96:97], v[106:107], v[102:103]
	scratch_load_b64 v[106:107], off, off offset:304 ; 8-byte Folded Reload
	v_mul_f64 v[102:103], v[179:180], s[34:35]
	s_waitcnt vmcnt(3)
	s_delay_alu instid0(VALU_DEP_1) | instskip(SKIP_1) | instid1(VALU_DEP_2)
	v_add_f64 v[102:103], v[104:105], -v[102:103]
	v_mul_f64 v[104:105], v[171:172], s[30:31]
	v_add_f64 v[100:101], v[102:103], v[100:101]
	v_mul_f64 v[102:103], v[195:196], s[10:11]
	s_waitcnt vmcnt(0)
	s_delay_alu instid0(VALU_DEP_3) | instskip(SKIP_1) | instid1(VALU_DEP_2)
	v_add_f64 v[104:105], v[104:105], v[106:107]
	v_mul_f64 v[106:107], v[187:188], s[42:43]
	v_add_f64 v[14:15], v[104:105], v[14:15]
	s_delay_alu instid0(VALU_DEP_2)
	v_add_f64 v[106:107], v[108:109], -v[106:107]
	v_mul_f64 v[108:109], v[183:184], s[22:23]
	scratch_load_b64 v[104:105], off, off offset:360 ; 8-byte Folded Reload
	v_add_f64 v[100:101], v[106:107], v[100:101]
	v_add_f64 v[108:109], v[108:109], v[122:123]
	v_mul_f64 v[122:123], v[199:200], s[36:37]
	v_mul_f64 v[106:107], v[203:204], s[26:27]
	s_delay_alu instid0(VALU_DEP_3) | instskip(SKIP_3) | instid1(VALU_DEP_2)
	v_add_f64 v[14:15], v[108:109], v[14:15]
	scratch_load_b64 v[108:109], off, off offset:384 ; 8-byte Folded Reload
	v_add_f64 v[122:123], v[124:125], -v[122:123]
	v_mul_f64 v[124:125], v[191:192], s[2:3]
	v_add_f64 v[100:101], v[122:123], v[100:101]
	s_delay_alu instid0(VALU_DEP_2) | instskip(SKIP_2) | instid1(VALU_DEP_3)
	v_add_f64 v[124:125], v[124:125], v[126:127]
	v_mul_f64 v[126:127], v[207:208], s[8:9]
	v_mul_f64 v[122:123], v[199:200], s[20:21]
	v_add_f64 v[14:15], v[124:125], v[14:15]
	s_delay_alu instid0(VALU_DEP_3) | instskip(NEXT) | instid1(VALU_DEP_3)
	v_add_f64 v[126:127], v[128:129], -v[126:127]
	v_add_f64 v[122:123], v[201:202], -v[122:123]
	v_mul_f64 v[124:125], v[191:192], s[18:19]
	s_delay_alu instid0(VALU_DEP_3) | instskip(SKIP_1) | instid1(VALU_DEP_3)
	v_add_f64 v[100:101], v[126:127], v[100:101]
	v_mul_f64 v[126:127], v[207:208], s[44:45]
	v_add_f64 v[124:125], v[124:125], v[185:186]
	s_delay_alu instid0(VALU_DEP_2) | instskip(SKIP_3) | instid1(VALU_DEP_2)
	v_add_f64 v[126:127], v[213:214], -v[126:127]
	s_waitcnt vmcnt(1)
	v_add_f64 v[102:103], v[102:103], v[104:105]
	v_mul_f64 v[104:105], v[215:216], s[28:29]
	v_add_f64 v[14:15], v[102:103], v[14:15]
	s_delay_alu instid0(VALU_DEP_2) | instskip(SKIP_2) | instid1(VALU_DEP_2)
	v_add_f64 v[104:105], v[181:182], -v[104:105]
	s_waitcnt vmcnt(0)
	v_add_f64 v[106:107], v[106:107], v[108:109]
	v_add_f64 v[102:103], v[104:105], v[100:101]
	v_mul_f64 v[104:105], v[171:172], s[26:27]
	v_mul_f64 v[108:109], v[183:184], s[2:3]
	s_delay_alu instid0(VALU_DEP_4) | instskip(SKIP_4) | instid1(VALU_DEP_4)
	v_add_f64 v[100:101], v[106:107], v[14:15]
	v_mul_f64 v[14:15], v[179:180], s[40:41]
	v_mul_f64 v[106:107], v[187:188], s[36:37]
	v_add_f64 v[104:105], v[104:105], v[168:169]
	v_add_f64 v[108:109], v[108:109], v[177:178]
	v_add_f64 v[14:15], v[189:190], -v[14:15]
	s_delay_alu instid0(VALU_DEP_4) | instskip(NEXT) | instid1(VALU_DEP_4)
	v_add_f64 v[106:107], v[197:198], -v[106:107]
	v_add_f64 v[104:105], v[104:105], v[110:111]
	v_mul_f64 v[110:111], v[195:196], s[30:31]
	s_delay_alu instid0(VALU_DEP_4) | instskip(NEXT) | instid1(VALU_DEP_3)
	v_add_f64 v[14:15], v[14:15], v[120:121]
	v_add_f64 v[104:105], v[108:109], v[104:105]
	s_delay_alu instid0(VALU_DEP_3) | instskip(NEXT) | instid1(VALU_DEP_3)
	v_add_f64 v[110:111], v[110:111], v[193:194]
	v_add_f64 v[14:15], v[106:107], v[14:15]
	v_mul_f64 v[106:107], v[215:216], s[46:47]
	s_delay_alu instid0(VALU_DEP_4) | instskip(NEXT) | instid1(VALU_DEP_3)
	v_add_f64 v[104:105], v[124:125], v[104:105]
	v_add_f64 v[14:15], v[122:123], v[14:15]
	s_delay_alu instid0(VALU_DEP_3) | instskip(SKIP_1) | instid1(VALU_DEP_4)
	v_add_f64 v[0:1], v[0:1], -v[106:107]
	v_mul_f64 v[106:107], v[203:204], s[10:11]
	v_add_f64 v[104:105], v[110:111], v[104:105]
	s_delay_alu instid0(VALU_DEP_4) | instskip(NEXT) | instid1(VALU_DEP_3)
	v_add_f64 v[14:15], v[126:127], v[14:15]
	v_add_f64 v[108:109], v[106:107], v[209:210]
	s_delay_alu instid0(VALU_DEP_2) | instskip(SKIP_2) | instid1(VALU_DEP_4)
	v_add_f64 v[106:107], v[0:1], v[14:15]
	v_mul_f64 v[0:1], v[179:180], s[38:39]
	v_mul_f64 v[14:15], v[187:188], s[8:9]
	v_add_f64 v[104:105], v[108:109], v[104:105]
	s_delay_alu instid0(VALU_DEP_3) | instskip(SKIP_1) | instid1(VALU_DEP_4)
	v_add_f64 v[0:1], v[4:5], -v[0:1]
	v_mul_f64 v[4:5], v[171:172], s[18:19]
	v_add_f64 v[6:7], v[6:7], -v[14:15]
	v_mul_f64 v[14:15], v[183:184], s[10:11]
	s_delay_alu instid0(VALU_DEP_4) | instskip(NEXT) | instid1(VALU_DEP_4)
	v_add_f64 v[0:1], v[0:1], v[118:119]
	v_add_f64 v[4:5], v[4:5], v[64:65]
	v_mul_f64 v[64:65], v[199:200], s[44:45]
	s_delay_alu instid0(VALU_DEP_4) | instskip(NEXT) | instid1(VALU_DEP_4)
	v_add_f64 v[14:15], v[14:15], v[66:67]
	v_add_f64 v[0:1], v[6:7], v[0:1]
	s_delay_alu instid0(VALU_DEP_4) | instskip(NEXT) | instid1(VALU_DEP_4)
	v_add_f64 v[4:5], v[4:5], v[112:113]
	v_add_f64 v[10:11], v[10:11], -v[64:65]
	v_mul_f64 v[64:65], v[191:192], s[30:31]
	v_mul_f64 v[6:7], v[215:216], s[24:25]
	s_delay_alu instid0(VALU_DEP_4) | instskip(NEXT) | instid1(VALU_DEP_4)
	v_add_f64 v[4:5], v[14:15], v[4:5]
	v_add_f64 v[0:1], v[10:11], v[0:1]
	s_delay_alu instid0(VALU_DEP_4)
	v_add_f64 v[2:3], v[64:65], v[2:3]
	v_mul_f64 v[64:65], v[207:208], s[36:37]
	v_add_f64 v[6:7], v[18:19], -v[6:7]
	s_clause 0x2
	scratch_load_b64 v[10:11], off, off offset:184
	scratch_load_b64 v[14:15], off, off offset:208
	;; [unrolled: 1-line block ×3, first 2 shown]
	v_add_f64 v[2:3], v[2:3], v[4:5]
	v_add_f64 v[16:17], v[16:17], -v[64:65]
	v_mul_f64 v[64:65], v[195:196], s[2:3]
	v_mul_f64 v[4:5], v[203:204], s[22:23]
	s_delay_alu instid0(VALU_DEP_3) | instskip(NEXT) | instid1(VALU_DEP_3)
	v_add_f64 v[0:1], v[16:17], v[0:1]
	v_add_f64 v[8:9], v[64:65], v[8:9]
	s_delay_alu instid0(VALU_DEP_3)
	v_add_f64 v[4:5], v[4:5], v[12:13]
	s_clause 0x2
	scratch_load_b64 v[16:17], off, off offset:192
	scratch_load_b64 v[64:65], off, off offset:200
	;; [unrolled: 1-line block ×3, first 2 shown]
	v_add_f64 v[8:9], v[8:9], v[2:3]
	v_add_f64 v[2:3], v[6:7], v[0:1]
	scratch_load_b64 v[6:7], off, off offset:168 ; 8-byte Folded Reload
	v_add_f64 v[0:1], v[4:5], v[8:9]
	scratch_load_b64 v[8:9], off, off offset:152 ; 8-byte Folded Reload
	v_mul_f64 v[4:5], v[179:180], s[8:9]
	s_waitcnt vmcnt(1)
	s_delay_alu instid0(VALU_DEP_1) | instskip(SKIP_1) | instid1(VALU_DEP_2)
	v_add_f64 v[4:5], v[6:7], -v[4:5]
	v_mul_f64 v[6:7], v[171:172], s[10:11]
	v_add_f64 v[4:5], v[4:5], v[114:115]
	s_waitcnt vmcnt(0)
	s_delay_alu instid0(VALU_DEP_2) | instskip(SKIP_1) | instid1(VALU_DEP_2)
	v_add_f64 v[6:7], v[6:7], v[8:9]
	v_mul_f64 v[8:9], v[187:188], s[20:21]
	v_add_f64 v[6:7], v[6:7], v[116:117]
	s_delay_alu instid0(VALU_DEP_2) | instskip(SKIP_1) | instid1(VALU_DEP_2)
	v_add_f64 v[8:9], v[10:11], -v[8:9]
	v_mul_f64 v[10:11], v[183:184], s[18:19]
	v_add_f64 v[4:5], v[8:9], v[4:5]
	s_delay_alu instid0(VALU_DEP_2) | instskip(SKIP_2) | instid1(VALU_DEP_3)
	v_add_f64 v[10:11], v[10:11], v[12:13]
	v_mul_f64 v[12:13], v[199:200], s[24:25]
	v_mul_f64 v[8:9], v[215:216], s[34:35]
	v_add_f64 v[6:7], v[10:11], v[6:7]
	s_delay_alu instid0(VALU_DEP_3)
	v_add_f64 v[12:13], v[14:15], -v[12:13]
	scratch_load_b64 v[10:11], off, off offset:240 ; 8-byte Folded Reload
	v_mul_f64 v[14:15], v[191:192], s[22:23]
	v_add_f64 v[4:5], v[12:13], v[4:5]
	scratch_load_b64 v[12:13], off, off offset:216 ; 8-byte Folded Reload
	v_add_f64 v[14:15], v[14:15], v[16:17]
	v_mul_f64 v[16:17], v[207:208], s[28:29]
	s_delay_alu instid0(VALU_DEP_2) | instskip(NEXT) | instid1(VALU_DEP_2)
	v_add_f64 v[6:7], v[14:15], v[6:7]
	v_add_f64 v[16:17], v[18:19], -v[16:17]
	v_mul_f64 v[18:19], v[195:196], s[26:27]
	s_delay_alu instid0(VALU_DEP_2) | instskip(NEXT) | instid1(VALU_DEP_2)
	v_add_f64 v[4:5], v[16:17], v[4:5]
	v_add_f64 v[18:19], v[18:19], v[64:65]
	s_waitcnt vmcnt(1)
	v_add_f64 v[8:9], v[10:11], -v[8:9]
	v_mul_f64 v[10:11], v[203:204], s[30:31]
	s_waitcnt vmcnt(0)
	s_delay_alu instid0(VALU_DEP_1) | instskip(NEXT) | instid1(VALU_DEP_4)
	v_add_f64 v[10:11], v[10:11], v[12:13]
	v_add_f64 v[12:13], v[18:19], v[6:7]
	s_delay_alu instid0(VALU_DEP_4)
	v_add_f64 v[6:7], v[8:9], v[4:5]
	s_clause 0x1
	scratch_load_b32 v8, off, off offset:52
	scratch_load_b32 v9, off, off offset:8
	v_add_f64 v[4:5], v[10:11], v[12:13]
	s_waitcnt vmcnt(1)
	v_and_b32_e32 v8, 0xffff, v8
	s_waitcnt vmcnt(0)
	s_delay_alu instid0(VALU_DEP_1)
	v_lshl_add_u32 v8, v8, 4, v9
	ds_store_b128 v8, v[96:99] offset:32
	ds_store_b128 v8, v[100:103] offset:48
	;; [unrolled: 1-line block ×11, first 2 shown]
	ds_store_b128 v8, v[92:95]
	ds_store_b128 v8, v[144:147] offset:192
.LBB0_17:
	s_or_b32 exec_lo, exec_lo, s1
	s_waitcnt lgkmcnt(0)
	s_barrier
	buffer_gl0_inv
	ds_load_b128 v[92:95], v170
	ds_load_b128 v[112:115], v170 offset:2288
	ds_load_b128 v[108:111], v170 offset:4576
	;; [unrolled: 1-line block ×6, first 2 shown]
	s_and_saveexec_b32 s1, s0
	s_cbranch_execz .LBB0_19
; %bb.18:
	ds_load_b128 v[156:159], v170 offset:1456
	ds_load_b128 v[164:167], v170 offset:3744
	;; [unrolled: 1-line block ×7, first 2 shown]
	s_waitcnt lgkmcnt(0)
	scratch_store_b128 off, v[0:3], off offset:12 ; 16-byte Folded Spill
.LBB0_19:
	s_or_b32 exec_lo, exec_lo, s1
	s_waitcnt lgkmcnt(5)
	v_mul_f64 v[2:3], v[38:39], v[112:113]
	s_waitcnt lgkmcnt(4)
	v_mul_f64 v[6:7], v[30:31], v[108:109]
	;; [unrolled: 2-line block ×3, first 2 shown]
	v_mul_f64 v[14:15], v[26:27], v[104:105]
	v_mul_f64 v[0:1], v[38:39], v[114:115]
	;; [unrolled: 1-line block ×9, first 2 shown]
	s_mov_b32 s8, 0x37e14327
	s_mov_b32 s16, 0xe976ee23
	;; [unrolled: 1-line block ×20, first 2 shown]
	s_waitcnt_vscnt null, 0x0
	s_barrier
	buffer_gl0_inv
	v_fma_f64 v[2:3], v[36:37], v[114:115], -v[2:3]
	v_fma_f64 v[6:7], v[28:29], v[110:111], -v[6:7]
	v_fma_f64 v[10:11], v[32:33], v[118:119], -v[10:11]
	v_fma_f64 v[14:15], v[24:25], v[106:107], -v[14:15]
	v_fma_f64 v[0:1], v[36:37], v[112:113], v[0:1]
	v_fma_f64 v[4:5], v[28:29], v[108:109], v[4:5]
	;; [unrolled: 1-line block ×5, first 2 shown]
	v_fma_f64 v[18:19], v[44:45], v[102:103], -v[18:19]
	v_fma_f64 v[20:21], v[40:41], v[96:97], v[20:21]
	v_fma_f64 v[22:23], v[40:41], v[98:99], -v[22:23]
	v_add_f64 v[26:27], v[2:3], v[10:11]
	v_add_f64 v[30:31], v[6:7], v[14:15]
	v_add_f64 v[6:7], v[6:7], -v[14:15]
	v_add_f64 v[10:11], v[2:3], -v[10:11]
	v_add_f64 v[24:25], v[0:1], v[8:9]
	v_add_f64 v[28:29], v[4:5], v[12:13]
	v_add_f64 v[4:5], v[4:5], -v[12:13]
	v_add_f64 v[8:9], v[0:1], -v[8:9]
	;; [unrolled: 4-line block ×3, first 2 shown]
	v_add_f64 v[2:3], v[30:31], v[26:27]
	v_add_f64 v[38:39], v[6:7], -v[10:11]
	v_add_f64 v[0:1], v[28:29], v[24:25]
	v_add_f64 v[36:37], v[4:5], -v[8:9]
	v_add_f64 v[20:21], v[24:25], -v[12:13]
	;; [unrolled: 1-line block ×5, first 2 shown]
	v_add_f64 v[4:5], v[16:17], v[4:5]
	v_add_f64 v[6:7], v[18:19], v[6:7]
	v_add_f64 v[16:17], v[8:9], -v[16:17]
	v_add_f64 v[18:19], v[10:11], -v[18:19]
	;; [unrolled: 1-line block ×4, first 2 shown]
	v_add_f64 v[42:43], v[14:15], v[2:3]
	v_add_f64 v[14:15], v[14:15], -v[30:31]
	v_mul_f64 v[46:47], v[38:39], s[2:3]
	v_add_f64 v[40:41], v[12:13], v[0:1]
	v_add_f64 v[12:13], v[12:13], -v[28:29]
	v_mul_f64 v[44:45], v[36:37], s[2:3]
	v_mul_f64 v[20:21], v[20:21], s[8:9]
	v_mul_f64 v[22:23], v[22:23], s[8:9]
	v_mul_f64 v[32:33], v[32:33], s[16:17]
	v_mul_f64 v[34:35], v[34:35], s[16:17]
	v_add_f64 v[4:5], v[4:5], v[8:9]
	v_add_f64 v[6:7], v[6:7], v[10:11]
	;; [unrolled: 1-line block ×3, first 2 shown]
	v_mul_f64 v[30:31], v[14:15], s[20:21]
	v_add_f64 v[0:1], v[92:93], v[40:41]
	v_mul_f64 v[28:29], v[12:13], s[20:21]
	v_fma_f64 v[8:9], v[12:13], s[20:21], v[20:21]
	v_fma_f64 v[10:11], v[14:15], s[20:21], v[22:23]
	;; [unrolled: 1-line block ×4, first 2 shown]
	v_fma_f64 v[34:35], v[38:39], s[2:3], -v[34:35]
	v_fma_f64 v[18:19], v[18:19], s[26:27], -v[46:47]
	;; [unrolled: 1-line block ×6, first 2 shown]
	v_fma_f64 v[38:39], v[42:43], s[10:11], v[2:3]
	v_fma_f64 v[26:27], v[26:27], s[18:19], -v[30:31]
	v_fma_f64 v[36:37], v[40:41], s[10:11], v[0:1]
	v_fma_f64 v[24:25], v[24:25], s[18:19], -v[28:29]
	v_fma_f64 v[28:29], v[4:5], s[28:29], v[12:13]
	v_fma_f64 v[30:31], v[6:7], s[28:29], v[14:15]
	;; [unrolled: 1-line block ×6, first 2 shown]
	v_add_f64 v[46:47], v[10:11], v[38:39]
	v_add_f64 v[18:19], v[26:27], v[38:39]
	;; [unrolled: 1-line block ×6, first 2 shown]
	v_add_f64 v[6:7], v[46:47], -v[28:29]
	v_add_f64 v[26:27], v[28:29], v[46:47]
	scratch_load_b32 v28, off, off offset:48 ; 4-byte Folded Reload
	v_add_f64 v[10:11], v[22:23], -v[40:41]
	v_add_f64 v[4:5], v[30:31], v[44:45]
	v_add_f64 v[8:9], v[42:43], v[20:21]
	v_add_f64 v[12:13], v[16:17], -v[34:35]
	v_add_f64 v[14:15], v[32:33], v[18:19]
	v_add_f64 v[16:17], v[34:35], v[16:17]
	v_add_f64 v[18:19], v[18:19], -v[32:33]
	v_add_f64 v[20:21], v[20:21], -v[42:43]
	v_add_f64 v[22:23], v[40:41], v[22:23]
	v_add_f64 v[24:25], v[44:45], -v[30:31]
	s_waitcnt vmcnt(0)
	ds_store_b128 v28, v[0:3]
	ds_store_b128 v28, v[4:7] offset:208
	ds_store_b128 v28, v[8:11] offset:416
	;; [unrolled: 1-line block ×6, first 2 shown]
	s_and_saveexec_b32 s1, s0
	s_cbranch_execz .LBB0_21
; %bb.20:
	s_clause 0x5
	scratch_load_b128 v[32:35], off, off offset:88
	scratch_load_b128 v[64:67], off, off offset:12
	;; [unrolled: 1-line block ×6, first 2 shown]
	s_waitcnt vmcnt(4)
	v_mul_f64 v[0:1], v[34:35], v[64:65]
	v_mul_f64 v[10:11], v[34:35], v[66:67]
	scratch_load_b128 v[34:37], off, off offset:104 ; 16-byte Folded Reload
	s_waitcnt vmcnt(4)
	v_mul_f64 v[2:3], v[30:31], v[164:165]
	s_waitcnt vmcnt(2)
	v_mul_f64 v[4:5], v[44:45], v[144:145]
	v_mul_f64 v[6:7], v[26:27], v[160:161]
	;; [unrolled: 1-line block ×5, first 2 shown]
	s_waitcnt vmcnt(1)
	v_mul_f64 v[18:19], v[40:41], v[154:155]
	v_mul_f64 v[20:21], v[40:41], v[152:153]
	v_fma_f64 v[0:1], v[32:33], v[66:67], -v[0:1]
	v_fma_f64 v[10:11], v[32:33], v[64:65], v[10:11]
	v_fma_f64 v[2:3], v[28:29], v[166:167], -v[2:3]
	v_fma_f64 v[4:5], v[42:43], v[146:147], -v[4:5]
	;; [unrolled: 1-line block ×3, first 2 shown]
	v_fma_f64 v[8:9], v[28:29], v[164:165], v[8:9]
	v_fma_f64 v[12:13], v[24:25], v[160:161], v[12:13]
	;; [unrolled: 1-line block ×4, first 2 shown]
	v_fma_f64 v[20:21], v[38:39], v[154:155], -v[20:21]
	v_add_f64 v[24:25], v[2:3], v[0:1]
	v_add_f64 v[26:27], v[6:7], v[4:5]
	;; [unrolled: 1-line block ×3, first 2 shown]
	v_add_f64 v[8:9], v[8:9], -v[10:11]
	v_add_f64 v[30:31], v[12:13], v[14:15]
	v_add_f64 v[12:13], v[12:13], -v[14:15]
	v_add_f64 v[4:5], v[6:7], -v[4:5]
	;; [unrolled: 1-line block ×3, first 2 shown]
	v_add_f64 v[10:11], v[26:27], v[24:25]
	v_add_f64 v[0:1], v[30:31], v[28:29]
	s_delay_alu instid0(VALU_DEP_3) | instskip(NEXT) | instid1(VALU_DEP_1)
	v_add_f64 v[38:39], v[4:5], -v[6:7]
	v_mul_f64 v[46:47], v[38:39], s[2:3]
	s_waitcnt vmcnt(0)
	v_mul_f64 v[16:17], v[36:37], v[150:151]
	v_mul_f64 v[22:23], v[36:37], v[148:149]
	s_delay_alu instid0(VALU_DEP_2) | instskip(NEXT) | instid1(VALU_DEP_2)
	v_fma_f64 v[16:17], v[34:35], v[148:149], v[16:17]
	v_fma_f64 v[22:23], v[34:35], v[150:151], -v[22:23]
	v_add_f64 v[34:35], v[12:13], -v[8:9]
	s_delay_alu instid0(VALU_DEP_3) | instskip(NEXT) | instid1(VALU_DEP_3)
	v_add_f64 v[32:33], v[16:17], -v[18:19]
	v_add_f64 v[14:15], v[20:21], v[22:23]
	v_add_f64 v[16:17], v[18:19], v[16:17]
	v_add_f64 v[18:19], v[22:23], -v[20:21]
	v_mul_f64 v[44:45], v[34:35], s[2:3]
	v_add_f64 v[2:3], v[32:33], -v[12:13]
	v_add_f64 v[20:21], v[24:25], -v[14:15]
	v_add_f64 v[22:23], v[28:29], -v[16:17]
	v_add_f64 v[10:11], v[14:15], v[10:11]
	v_add_f64 v[14:15], v[14:15], -v[26:27]
	v_add_f64 v[36:37], v[18:19], -v[4:5]
	v_add_f64 v[40:41], v[16:17], v[0:1]
	v_add_f64 v[16:17], v[16:17], -v[30:31]
	v_add_f64 v[42:43], v[8:9], -v[32:33]
	v_add_f64 v[12:13], v[32:33], v[12:13]
	v_add_f64 v[4:5], v[18:19], v[4:5]
	v_add_f64 v[18:19], v[6:7], -v[18:19]
	v_add_f64 v[24:25], v[26:27], -v[24:25]
	;; [unrolled: 1-line block ×3, first 2 shown]
	v_mul_f64 v[32:33], v[2:3], s[16:17]
	v_mul_f64 v[20:21], v[20:21], s[8:9]
	;; [unrolled: 1-line block ×3, first 2 shown]
	v_add_f64 v[2:3], v[158:159], v[10:11]
	v_mul_f64 v[26:27], v[14:15], s[20:21]
	v_mul_f64 v[36:37], v[36:37], s[16:17]
	v_add_f64 v[0:1], v[156:157], v[40:41]
	v_mul_f64 v[30:31], v[16:17], s[20:21]
	v_add_f64 v[8:9], v[12:13], v[8:9]
	v_add_f64 v[4:5], v[4:5], v[6:7]
	v_fma_f64 v[6:7], v[42:43], s[24:25], v[32:33]
	v_fma_f64 v[12:13], v[14:15], s[20:21], v[20:21]
	;; [unrolled: 1-line block ×3, first 2 shown]
	v_fma_f64 v[16:17], v[42:43], s[26:27], -v[44:45]
	v_fma_f64 v[32:33], v[34:35], s[2:3], -v[32:33]
	v_fma_f64 v[10:11], v[10:11], s[10:11], v[2:3]
	v_fma_f64 v[20:21], v[24:25], s[22:23], -v[20:21]
	v_fma_f64 v[24:25], v[24:25], s[18:19], -v[26:27]
	v_fma_f64 v[26:27], v[18:19], s[24:25], v[36:37]
	v_fma_f64 v[18:19], v[18:19], s[26:27], -v[46:47]
	v_fma_f64 v[34:35], v[38:39], s[2:3], -v[36:37]
	v_fma_f64 v[36:37], v[40:41], s[10:11], v[0:1]
	v_fma_f64 v[22:23], v[28:29], s[22:23], -v[22:23]
	v_fma_f64 v[28:29], v[28:29], s[18:19], -v[30:31]
	v_fma_f64 v[30:31], v[8:9], s[28:29], v[6:7]
	v_fma_f64 v[16:17], v[8:9], s[28:29], v[16:17]
	v_fma_f64 v[8:9], v[8:9], s[28:29], v[32:33]
	v_add_f64 v[12:13], v[12:13], v[10:11]
	v_add_f64 v[20:21], v[20:21], v[10:11]
	;; [unrolled: 1-line block ×3, first 2 shown]
	v_fma_f64 v[32:33], v[4:5], s[28:29], v[26:27]
	v_fma_f64 v[38:39], v[4:5], s[28:29], v[18:19]
	;; [unrolled: 1-line block ×3, first 2 shown]
	v_add_f64 v[34:35], v[14:15], v[36:37]
	v_add_f64 v[40:41], v[22:23], v[36:37]
	;; [unrolled: 1-line block ×5, first 2 shown]
	v_add_f64 v[22:23], v[20:21], -v[16:17]
	v_add_f64 v[26:27], v[12:13], -v[30:31]
	;; [unrolled: 1-line block ×3, first 2 shown]
	v_add_f64 v[18:19], v[8:9], v[24:25]
	v_add_f64 v[24:25], v[32:33], v[34:35]
	;; [unrolled: 1-line block ×3, first 2 shown]
	v_add_f64 v[16:17], v[28:29], -v[4:5]
	v_add_f64 v[12:13], v[4:5], v[28:29]
	s_clause 0x1
	scratch_load_b32 v28, off, off offset:40
	scratch_load_b32 v29, off, off offset:32
	v_add_f64 v[8:9], v[40:41], -v[38:39]
	v_add_f64 v[4:5], v[34:35], -v[32:33]
	s_waitcnt vmcnt(1)
	v_mul_u32_u24_e32 v28, 0x5b, v28
	s_waitcnt vmcnt(0)
	s_delay_alu instid0(VALU_DEP_1)
	v_add_nc_u32_e32 v28, v28, v29
	scratch_load_b32 v29, off, off offset:8 ; 4-byte Folded Reload
	s_waitcnt vmcnt(0)
	v_lshl_add_u32 v28, v28, 4, v29
	ds_store_b128 v28, v[0:3]
	ds_store_b128 v28, v[24:27] offset:208
	ds_store_b128 v28, v[20:23] offset:416
	;; [unrolled: 1-line block ×6, first 2 shown]
.LBB0_21:
	s_or_b32 exec_lo, exec_lo, s1
	s_waitcnt lgkmcnt(0)
	s_barrier
	buffer_gl0_inv
	ds_load_b128 v[0:3], v170 offset:1456
	ds_load_b128 v[8:11], v170 offset:14560
	;; [unrolled: 1-line block ×10, first 2 shown]
	s_mov_b32 s0, 0xf8bb580b
	s_mov_b32 s2, 0x8764f0ba
	;; [unrolled: 1-line block ×14, first 2 shown]
	s_waitcnt lgkmcnt(8)
	v_mul_f64 v[44:45], v[50:51], v[8:9]
	s_waitcnt lgkmcnt(7)
	v_mul_f64 v[46:47], v[62:63], v[12:13]
	v_mul_f64 v[4:5], v[58:59], v[2:3]
	;; [unrolled: 1-line block ×3, first 2 shown]
	s_waitcnt lgkmcnt(6)
	v_mul_f64 v[58:59], v[54:55], v[16:17]
	v_mul_f64 v[62:63], v[62:63], v[14:15]
	s_waitcnt lgkmcnt(5)
	v_mul_f64 v[66:67], v[74:75], v[20:21]
	s_waitcnt lgkmcnt(4)
	v_mul_f64 v[92:93], v[82:83], v[24:25]
	v_mul_f64 v[50:51], v[50:51], v[10:11]
	v_mul_f64 v[74:75], v[74:75], v[22:23]
	v_mul_f64 v[54:55], v[54:55], v[18:19]
	v_mul_f64 v[82:83], v[82:83], v[26:27]
	s_waitcnt lgkmcnt(1)
	v_mul_f64 v[96:97], v[78:79], v[38:39]
	v_mul_f64 v[94:95], v[70:71], v[30:31]
	v_mul_f64 v[70:71], v[70:71], v[28:29]
	v_mul_f64 v[78:79], v[78:79], v[36:37]
	v_mul_f64 v[98:99], v[90:91], v[34:35]
	v_mul_f64 v[90:91], v[90:91], v[32:33]
	s_mov_b32 s27, 0xbfe82f19
	s_mov_b32 s29, 0xbfe4f49e
	s_mov_b32 s34, 0xfd768dbf
	s_mov_b32 s36, 0x9bcd5057
	s_mov_b32 s35, 0xbfd207e7
	s_mov_b32 s37, 0xbfeeb42a
	s_mov_b32 s9, 0x3fe14ced
	s_mov_b32 s19, 0x3fed1bb4
	s_mov_b32 s8, s0
	s_mov_b32 s18, s10
	s_mov_b32 s25, 0x3fefac9e
	s_mov_b32 s39, 0x3fd207e7
	s_mov_b32 s24, s20
	s_mov_b32 s38, s34
	s_mov_b32 s31, 0x3fe82f19
	s_mov_b32 s30, s26
	v_fma_f64 v[64:65], v[56:57], v[0:1], v[4:5]
	v_fma_f64 v[56:57], v[56:57], v[2:3], -v[6:7]
	ds_load_b128 v[0:3], v170
	s_waitcnt lgkmcnt(1)
	v_mul_f64 v[100:101], v[86:87], v[42:43]
	v_mul_f64 v[86:87], v[86:87], v[40:41]
	v_fma_f64 v[4:5], v[48:49], v[10:11], -v[44:45]
	v_fma_f64 v[44:45], v[60:61], v[14:15], -v[46:47]
	;; [unrolled: 1-line block ×3, first 2 shown]
	v_fma_f64 v[18:19], v[60:61], v[12:13], v[62:63]
	v_fma_f64 v[22:23], v[72:73], v[22:23], -v[66:67]
	v_fma_f64 v[12:13], v[80:81], v[26:27], -v[92:93]
	v_fma_f64 v[8:9], v[48:49], v[8:9], v[50:51]
	v_fma_f64 v[20:21], v[72:73], v[20:21], v[74:75]
	;; [unrolled: 1-line block ×6, first 2 shown]
	v_fma_f64 v[24:25], v[68:69], v[30:31], -v[70:71]
	v_fma_f64 v[28:29], v[76:77], v[38:39], -v[78:79]
	v_fma_f64 v[30:31], v[88:89], v[32:33], v[98:99]
	v_fma_f64 v[32:33], v[88:89], v[34:35], -v[90:91]
	s_waitcnt lgkmcnt(0)
	v_add_f64 v[46:47], v[0:1], v[64:65]
	v_add_f64 v[58:59], v[2:3], v[56:57]
	v_fma_f64 v[34:35], v[84:85], v[40:41], v[100:101]
	v_fma_f64 v[36:37], v[84:85], v[42:43], -v[86:87]
	v_add_f64 v[38:39], v[56:57], -v[4:5]
	v_add_f64 v[40:41], v[56:57], v[4:5]
	v_add_f64 v[42:43], v[44:45], -v[6:7]
	v_add_f64 v[48:49], v[44:45], v[6:7]
	;; [unrolled: 2-line block ×3, first 2 shown]
	v_add_f64 v[54:55], v[64:65], v[8:9]
	v_add_f64 v[60:61], v[20:21], v[14:15]
	v_add_f64 v[62:63], v[20:21], -v[14:15]
	v_add_f64 v[56:57], v[64:65], -v[8:9]
	v_add_f64 v[64:65], v[16:17], v[26:27]
	v_add_f64 v[70:71], v[16:17], -v[26:27]
	v_add_f64 v[66:67], v[24:25], v[28:29]
	;; [unrolled: 2-line block ×3, first 2 shown]
	v_add_f64 v[44:45], v[58:59], v[44:45]
	v_add_f64 v[58:59], v[18:19], v[10:11]
	v_add_f64 v[18:19], v[18:19], -v[10:11]
	v_add_f64 v[74:75], v[32:33], v[36:37]
	v_mul_f64 v[80:81], v[38:39], s[0:1]
	v_mul_f64 v[82:83], v[40:41], s[2:3]
	;; [unrolled: 1-line block ×24, first 2 shown]
	v_add_f64 v[72:73], v[30:31], v[34:35]
	v_add_f64 v[76:77], v[30:31], -v[34:35]
	v_add_f64 v[78:79], v[32:33], -v[36:37]
	v_mul_f64 v[50:51], v[50:51], s[26:27]
	v_mul_f64 v[52:53], v[52:53], s[28:29]
	;; [unrolled: 1-line block ×6, first 2 shown]
	v_add_f64 v[20:21], v[46:47], v[20:21]
	v_add_f64 v[22:23], v[44:45], v[22:23]
	v_mul_f64 v[44:45], v[48:49], s[28:29]
	v_mul_f64 v[46:47], v[42:43], s[38:39]
	;; [unrolled: 1-line block ×6, first 2 shown]
	v_fma_f64 v[156:157], v[54:55], s[16:17], v[84:85]
	v_fma_f64 v[158:159], v[56:57], s[18:19], v[86:87]
	v_fma_f64 v[84:85], v[54:55], s[16:17], -v[84:85]
	v_fma_f64 v[160:161], v[54:55], s[22:23], v[88:89]
	v_fma_f64 v[162:163], v[56:57], s[24:25], v[90:91]
	v_fma_f64 v[88:89], v[54:55], s[22:23], -v[88:89]
	v_fma_f64 v[164:165], v[54:55], s[28:29], v[92:93]
	v_fma_f64 v[166:167], v[56:57], s[30:31], v[94:95]
	v_mul_f64 v[42:43], v[42:43], s[8:9]
	v_mul_f64 v[48:49], v[48:49], s[2:3]
	v_fma_f64 v[92:93], v[54:55], s[28:29], -v[92:93]
	v_fma_f64 v[168:169], v[54:55], s[36:37], v[38:39]
	v_fma_f64 v[170:171], v[56:57], s[38:39], v[40:41]
	v_fma_f64 v[38:39], v[54:55], s[36:37], -v[38:39]
	v_fma_f64 v[40:41], v[56:57], s[34:35], v[40:41]
	v_fma_f64 v[94:95], v[56:57], s[26:27], v[94:95]
	;; [unrolled: 1-line block ×5, first 2 shown]
	v_fma_f64 v[100:101], v[58:59], s[28:29], -v[100:101]
	v_fma_f64 v[178:179], v[18:19], s[34:35], v[102:103]
	v_fma_f64 v[180:181], v[58:59], s[22:23], v[104:105]
	;; [unrolled: 1-line block ×3, first 2 shown]
	v_fma_f64 v[104:105], v[58:59], s[22:23], -v[104:105]
	v_fma_f64 v[102:103], v[18:19], s[38:39], v[102:103]
	v_fma_f64 v[184:185], v[60:61], s[36:37], v[112:113]
	;; [unrolled: 1-line block ×3, first 2 shown]
	v_mul_f64 v[132:133], v[68:69], s[0:1]
	v_mul_f64 v[134:135], v[66:67], s[2:3]
	v_fma_f64 v[188:189], v[60:61], s[16:17], v[116:117]
	v_add_f64 v[16:17], v[20:21], v[16:17]
	v_add_f64 v[20:21], v[22:23], v[24:25]
	v_mul_f64 v[22:23], v[74:75], s[22:23]
	v_fma_f64 v[24:25], v[54:55], s[2:3], v[80:81]
	v_fma_f64 v[74:75], v[56:57], s[8:9], v[82:83]
	v_fma_f64 v[80:81], v[54:55], s[2:3], -v[80:81]
	v_fma_f64 v[82:83], v[56:57], s[0:1], v[82:83]
	v_fma_f64 v[54:55], v[58:59], s[16:17], v[96:97]
	;; [unrolled: 1-line block ×3, first 2 shown]
	v_fma_f64 v[96:97], v[58:59], s[16:17], -v[96:97]
	v_fma_f64 v[98:99], v[18:19], s[10:11], v[98:99]
	v_fma_f64 v[174:175], v[18:19], s[30:31], v[44:45]
	v_add_f64 v[156:157], v[0:1], v[156:157]
	v_add_f64 v[158:159], v[2:3], v[158:159]
	v_fma_f64 v[176:177], v[58:59], s[36:37], v[46:47]
	v_add_f64 v[84:85], v[0:1], v[84:85]
	v_add_f64 v[160:161], v[0:1], v[160:161]
	;; [unrolled: 1-line block ×3, first 2 shown]
	v_fma_f64 v[46:47], v[58:59], s[36:37], -v[46:47]
	v_add_f64 v[88:89], v[0:1], v[88:89]
	v_add_f64 v[164:165], v[0:1], v[164:165]
	;; [unrolled: 1-line block ×6, first 2 shown]
	v_fma_f64 v[44:45], v[18:19], s[26:27], v[44:45]
	v_add_f64 v[90:91], v[2:3], v[90:91]
	v_add_f64 v[86:87], v[2:3], v[86:87]
	v_fma_f64 v[190:191], v[62:63], s[10:11], v[118:119]
	v_mul_f64 v[136:137], v[68:69], s[34:35]
	v_mul_f64 v[138:139], v[66:67], s[36:37]
	v_mul_f64 v[68:69], v[68:69], s[18:19]
	v_mul_f64 v[66:67], v[66:67], s[16:17]
	v_fma_f64 v[116:117], v[60:61], s[16:17], -v[116:117]
	v_fma_f64 v[118:119], v[62:63], s[18:19], v[118:119]
	v_fma_f64 v[112:113], v[60:61], s[36:37], -v[112:113]
	v_fma_f64 v[114:115], v[62:63], s[38:39], v[114:115]
	v_mul_f64 v[144:145], v[78:79], s[8:9]
	v_add_f64 v[16:17], v[16:17], v[30:31]
	v_add_f64 v[20:21], v[20:21], v[32:33]
	v_fma_f64 v[30:31], v[18:19], s[24:25], v[106:107]
	v_add_f64 v[24:25], v[0:1], v[24:25]
	v_fma_f64 v[32:33], v[58:59], s[2:3], v[42:43]
	v_add_f64 v[80:81], v[0:1], v[80:81]
	v_add_f64 v[82:83], v[2:3], v[82:83]
	v_fma_f64 v[106:107], v[18:19], s[0:1], v[48:49]
	v_fma_f64 v[42:43], v[58:59], s[2:3], -v[42:43]
	v_fma_f64 v[18:19], v[18:19], s[8:9], v[48:49]
	v_add_f64 v[0:1], v[0:1], v[38:39]
	v_add_f64 v[38:39], v[2:3], v[40:41]
	v_add_f64 v[40:41], v[2:3], v[94:95]
	v_add_f64 v[2:3], v[2:3], v[74:75]
	v_fma_f64 v[48:49], v[60:61], s[22:23], v[108:109]
	v_fma_f64 v[58:59], v[62:63], s[24:25], v[110:111]
	v_fma_f64 v[108:109], v[60:61], s[22:23], -v[108:109]
	v_fma_f64 v[110:111], v[62:63], s[20:21], v[110:111]
	v_add_f64 v[84:85], v[100:101], v[84:85]
	v_add_f64 v[100:101], v[178:179], v[162:163]
	;; [unrolled: 1-line block ×4, first 2 shown]
	v_fma_f64 v[74:75], v[60:61], s[2:3], -v[120:121]
	v_fma_f64 v[94:95], v[62:63], s[0:1], v[122:123]
	v_add_f64 v[92:93], v[104:105], v[92:93]
	v_fma_f64 v[192:193], v[64:65], s[22:23], v[128:129]
	v_fma_f64 v[194:195], v[70:71], s[20:21], v[130:131]
	v_mul_f64 v[140:141], v[78:79], s[34:35]
	v_mul_f64 v[148:149], v[78:79], s[26:27]
	;; [unrolled: 1-line block ×4, first 2 shown]
	v_fma_f64 v[128:129], v[64:65], s[22:23], -v[128:129]
	v_fma_f64 v[130:131], v[70:71], s[24:25], v[130:131]
	v_add_f64 v[16:17], v[16:17], v[34:35]
	v_add_f64 v[20:21], v[20:21], v[36:37]
	v_fma_f64 v[34:35], v[60:61], s[2:3], v[120:121]
	v_add_f64 v[24:25], v[54:55], v[24:25]
	v_fma_f64 v[36:37], v[62:63], s[8:9], v[122:123]
	v_add_f64 v[54:55], v[96:97], v[80:81]
	v_add_f64 v[80:81], v[98:99], v[82:83]
	;; [unrolled: 1-line block ×6, first 2 shown]
	v_fma_f64 v[120:121], v[60:61], s[28:29], v[50:51]
	v_fma_f64 v[122:123], v[62:63], s[30:31], v[52:53]
	v_add_f64 v[32:33], v[32:33], v[168:169]
	v_add_f64 v[104:105], v[106:107], v[170:171]
	v_fma_f64 v[50:51], v[60:61], s[28:29], -v[50:51]
	v_fma_f64 v[52:53], v[62:63], s[26:27], v[52:53]
	v_add_f64 v[0:1], v[42:43], v[0:1]
	v_add_f64 v[18:19], v[18:19], v[38:39]
	;; [unrolled: 1-line block ×6, first 2 shown]
	v_fma_f64 v[60:61], v[64:65], s[28:29], v[124:125]
	v_fma_f64 v[62:63], v[70:71], s[30:31], v[126:127]
	v_fma_f64 v[124:125], v[64:65], s[28:29], -v[124:125]
	v_fma_f64 v[126:127], v[70:71], s[26:27], v[126:127]
	v_fma_f64 v[56:57], v[64:65], s[36:37], v[136:137]
	;; [unrolled: 1-line block ×3, first 2 shown]
	v_fma_f64 v[42:43], v[64:65], s[2:3], -v[132:133]
	v_fma_f64 v[90:91], v[64:65], s[36:37], -v[136:137]
	v_fma_f64 v[106:107], v[64:65], s[16:17], v[68:69]
	v_add_f64 v[46:47], v[116:117], v[46:47]
	v_add_f64 v[74:75], v[74:75], v[92:93]
	v_fma_f64 v[102:103], v[70:71], s[34:35], v[138:139]
	v_fma_f64 v[44:45], v[70:71], s[0:1], v[134:135]
	v_add_f64 v[84:85], v[112:113], v[84:85]
	v_fma_f64 v[136:137], v[76:77], s[34:35], v[142:143]
	v_add_f64 v[16:17], v[16:17], v[26:27]
	v_add_f64 v[20:21], v[20:21], v[28:29]
	v_fma_f64 v[26:27], v[64:65], s[2:3], v[132:133]
	v_add_f64 v[24:25], v[48:49], v[24:25]
	v_fma_f64 v[28:29], v[70:71], s[8:9], v[134:135]
	v_add_f64 v[48:49], v[108:109], v[54:55]
	v_add_f64 v[54:55], v[110:111], v[80:81]
	;; [unrolled: 1-line block ×8, first 2 shown]
	v_fma_f64 v[132:133], v[70:71], s[10:11], v[66:67]
	v_add_f64 v[32:33], v[120:121], v[32:33]
	v_add_f64 v[88:89], v[122:123], v[104:105]
	v_fma_f64 v[64:65], v[64:65], s[16:17], -v[68:69]
	v_fma_f64 v[66:67], v[70:71], s[18:19], v[66:67]
	v_add_f64 v[0:1], v[50:51], v[0:1]
	v_add_f64 v[18:19], v[52:53], v[18:19]
	v_add_f64 v[30:31], v[94:95], v[30:31]
	v_add_f64 v[38:39], v[118:119], v[38:39]
	v_add_f64 v[40:41], v[114:115], v[40:41]
	v_add_f64 v[2:3], v[58:59], v[2:3]
	v_fma_f64 v[70:71], v[76:77], s[38:39], v[142:143]
	v_fma_f64 v[52:53], v[76:77], s[8:9], v[146:147]
	;; [unrolled: 1-line block ×8, first 2 shown]
	v_fma_f64 v[134:135], v[72:73], s[36:37], -v[140:141]
	v_fma_f64 v[58:59], v[72:73], s[28:29], v[148:149]
	v_fma_f64 v[104:105], v[72:73], s[16:17], v[152:153]
	;; [unrolled: 1-line block ×3, first 2 shown]
	v_add_f64 v[42:43], v[42:43], v[46:47]
	v_add_f64 v[46:47], v[90:91], v[74:75]
	;; [unrolled: 1-line block ×4, first 2 shown]
	v_fma_f64 v[16:17], v[72:73], s[2:3], v[144:145]
	v_fma_f64 v[20:21], v[76:77], s[0:1], v[146:147]
	;; [unrolled: 1-line block ×3, first 2 shown]
	v_add_f64 v[22:23], v[60:61], v[24:25]
	v_add_f64 v[24:25], v[124:125], v[48:49]
	;; [unrolled: 1-line block ×11, first 2 shown]
	v_fma_f64 v[50:51], v[72:73], s[2:3], -v[144:145]
	v_fma_f64 v[94:95], v[72:73], s[28:29], -v[148:149]
	;; [unrolled: 1-line block ×4, first 2 shown]
	v_add_f64 v[64:65], v[64:65], v[0:1]
	v_add_f64 v[66:67], v[66:67], v[18:19]
	;; [unrolled: 1-line block ×31, first 2 shown]
	ds_store_b128 v255, v[14:17] offset:2912
	ds_store_b128 v255, v[22:25] offset:4368
	;; [unrolled: 1-line block ×9, first 2 shown]
	ds_store_b128 v255, v[6:9]
	ds_store_b128 v255, v[0:3] offset:1456
	s_waitcnt lgkmcnt(0)
	s_barrier
	buffer_gl0_inv
	s_and_b32 exec_lo, exec_lo, vcc_lo
	s_cbranch_execz .LBB0_23
; %bb.22:
	scratch_load_b32 v12, off, off offset:28 ; 4-byte Folded Reload
	v_mad_u64_u32 v[98:99], null, s4, v254, 0
	s_mul_hi_u32 s1, s4, 0x4d0
	s_mul_i32 s2, s4, 0x4d0
	s_delay_alu instid0(VALU_DEP_1) | instskip(SKIP_2) | instid1(VALU_DEP_1)
	v_mov_b32_e32 v57, v99
	s_waitcnt vmcnt(0)
	v_add_co_u32 v32, s0, s14, v12
	v_add_co_ci_u32_e64 v33, null, s15, 0, s0
	s_clause 0x3
	global_load_b128 v[0:3], v12, s[14:15]
	global_load_b128 v[4:7], v12, s[14:15] offset:1232
	global_load_b128 v[8:11], v12, s[14:15] offset:2464
	;; [unrolled: 1-line block ×3, first 2 shown]
	v_add_co_u32 v24, vcc_lo, 0x1000, v32
	v_add_co_ci_u32_e32 v25, vcc_lo, 0, v33, vcc_lo
	v_add_co_u32 v36, vcc_lo, 0x2000, v32
	v_add_co_ci_u32_e32 v37, vcc_lo, 0, v33, vcc_lo
	;; [unrolled: 2-line block ×3, first 2 shown]
	s_clause 0x7
	global_load_b128 v[16:19], v[24:25], off offset:832
	global_load_b128 v[20:23], v[24:25], off offset:2064
	;; [unrolled: 1-line block ×8, first 2 shown]
	scratch_load_b64 v[48:49], off, off     ; 8-byte Folded Reload
	s_mul_i32 s0, s5, 0x4d0
	s_delay_alu instid0(SALU_CYCLE_1)
	s_add_i32 s3, s1, s0
	s_mov_b32 s0, 0x27a3ee9c
	s_mov_b32 s1, 0x3f505e1d
	s_waitcnt vmcnt(0)
	v_mov_b32_e32 v58, v48
	ds_load_b128 v[48:51], v255
	ds_load_b128 v[52:55], v255 offset:1232
	v_mad_u64_u32 v[80:81], null, s6, v58, 0
	v_mad_u64_u32 v[82:83], null, s5, v254, v[57:58]
	s_delay_alu instid0(VALU_DEP_1) | instskip(NEXT) | instid1(VALU_DEP_1)
	v_dual_mov_b32 v56, v81 :: v_dual_mov_b32 v99, v82
	v_mad_u64_u32 v[64:65], null, s7, v58, v[56:57]
	ds_load_b128 v[56:59], v255 offset:2464
	ds_load_b128 v[60:63], v255 offset:3696
	s_waitcnt lgkmcnt(2)
	v_mul_f64 v[102:103], v[54:55], v[6:7]
	v_mul_f64 v[6:7], v[52:53], v[6:7]
	v_lshlrev_b64 v[98:99], 4, v[98:99]
	v_mov_b32_e32 v81, v64
	ds_load_b128 v[64:67], v255 offset:4928
	ds_load_b128 v[68:71], v255 offset:6160
	;; [unrolled: 1-line block ×4, first 2 shown]
	v_lshlrev_b64 v[100:101], 4, v[80:81]
	ds_load_b128 v[80:83], v255 offset:9856
	ds_load_b128 v[84:87], v255 offset:11088
	;; [unrolled: 1-line block ×4, first 2 shown]
	v_add_co_u32 v124, vcc_lo, s12, v100
	v_add_co_ci_u32_e32 v125, vcc_lo, s13, v101, vcc_lo
	v_mul_f64 v[100:101], v[50:51], v[2:3]
	v_mul_f64 v[2:3], v[48:49], v[2:3]
	s_waitcnt lgkmcnt(9)
	v_mul_f64 v[104:105], v[58:59], v[10:11]
	v_mul_f64 v[10:11], v[56:57], v[10:11]
	s_waitcnt lgkmcnt(8)
	;; [unrolled: 3-line block ×10, first 2 shown]
	v_mul_f64 v[122:123], v[94:95], v[46:47]
	v_mul_f64 v[46:47], v[92:93], v[46:47]
	v_fma_f64 v[6:7], v[4:5], v[54:55], -v[6:7]
	v_add_co_u32 v98, vcc_lo, v124, v98
	v_add_co_ci_u32_e32 v99, vcc_lo, v125, v99, vcc_lo
	s_delay_alu instid0(VALU_DEP_2) | instskip(NEXT) | instid1(VALU_DEP_2)
	v_add_co_u32 v124, vcc_lo, v98, s2
	v_add_co_ci_u32_e32 v125, vcc_lo, s3, v99, vcc_lo
	s_delay_alu instid0(VALU_DEP_2) | instskip(NEXT) | instid1(VALU_DEP_2)
	v_add_co_u32 v126, vcc_lo, v124, s2
	v_add_co_ci_u32_e32 v127, vcc_lo, s3, v125, vcc_lo
	v_fma_f64 v[48:49], v[48:49], v[0:1], v[100:101]
	v_fma_f64 v[2:3], v[0:1], v[50:51], -v[2:3]
	v_fma_f64 v[50:51], v[52:53], v[4:5], v[102:103]
	v_fma_f64 v[52:53], v[56:57], v[8:9], v[104:105]
	v_fma_f64 v[10:11], v[8:9], v[58:59], -v[10:11]
	v_fma_f64 v[54:55], v[60:61], v[12:13], v[106:107]
	v_fma_f64 v[14:15], v[12:13], v[62:63], -v[14:15]
	;; [unrolled: 2-line block ×10, first 2 shown]
	v_add_co_u32 v72, vcc_lo, v126, s2
	v_add_co_ci_u32_e32 v73, vcc_lo, s3, v127, vcc_lo
	v_mul_f64 v[6:7], v[6:7], s[0:1]
	s_delay_alu instid0(VALU_DEP_3) | instskip(NEXT) | instid1(VALU_DEP_3)
	v_add_co_u32 v74, vcc_lo, v72, s2
	v_add_co_ci_u32_e32 v75, vcc_lo, s3, v73, vcc_lo
	s_delay_alu instid0(VALU_DEP_2) | instskip(NEXT) | instid1(VALU_DEP_2)
	v_add_co_u32 v76, vcc_lo, v74, s2
	v_add_co_ci_u32_e32 v77, vcc_lo, s3, v75, vcc_lo
	v_mul_f64 v[0:1], v[48:49], s[0:1]
	v_mul_f64 v[2:3], v[2:3], s[0:1]
	;; [unrolled: 1-line block ×23, first 2 shown]
	v_add_co_u32 v48, vcc_lo, v76, s2
	v_add_co_ci_u32_e32 v49, vcc_lo, s3, v77, vcc_lo
	s_delay_alu instid0(VALU_DEP_2) | instskip(NEXT) | instid1(VALU_DEP_2)
	v_add_co_u32 v50, vcc_lo, v48, s2
	v_add_co_ci_u32_e32 v51, vcc_lo, s3, v49, vcc_lo
	s_delay_alu instid0(VALU_DEP_2) | instskip(NEXT) | instid1(VALU_DEP_2)
	v_add_co_u32 v52, vcc_lo, v50, s2
	v_add_co_ci_u32_e32 v53, vcc_lo, s3, v51, vcc_lo
	s_delay_alu instid0(VALU_DEP_2) | instskip(NEXT) | instid1(VALU_DEP_2)
	v_add_co_u32 v54, vcc_lo, v52, s2
	v_add_co_ci_u32_e32 v55, vcc_lo, s3, v53, vcc_lo
	s_delay_alu instid0(VALU_DEP_2) | instskip(NEXT) | instid1(VALU_DEP_2)
	v_add_co_u32 v56, vcc_lo, v54, s2
	v_add_co_ci_u32_e32 v57, vcc_lo, s3, v55, vcc_lo
	s_delay_alu instid0(VALU_DEP_2) | instskip(NEXT) | instid1(VALU_DEP_2)
	v_add_co_u32 v58, vcc_lo, v56, s2
	v_add_co_ci_u32_e32 v59, vcc_lo, s3, v57, vcc_lo
	s_clause 0x4
	global_store_b128 v[98:99], v[0:3], off
	global_store_b128 v[124:125], v[4:7], off
	;; [unrolled: 1-line block ×12, first 2 shown]
	global_load_b128 v[0:3], v[96:97], off offset:2496
	ds_load_b128 v[4:7], v255 offset:14784
	s_waitcnt vmcnt(0) lgkmcnt(0)
	v_mul_f64 v[8:9], v[6:7], v[2:3]
	v_mul_f64 v[2:3], v[4:5], v[2:3]
	s_delay_alu instid0(VALU_DEP_2) | instskip(NEXT) | instid1(VALU_DEP_2)
	v_fma_f64 v[4:5], v[4:5], v[0:1], v[8:9]
	v_fma_f64 v[2:3], v[0:1], v[6:7], -v[2:3]
	s_delay_alu instid0(VALU_DEP_2) | instskip(NEXT) | instid1(VALU_DEP_2)
	v_mul_f64 v[0:1], v[4:5], s[0:1]
	v_mul_f64 v[2:3], v[2:3], s[0:1]
	v_add_co_u32 v4, vcc_lo, v58, s2
	v_add_co_ci_u32_e32 v5, vcc_lo, s3, v59, vcc_lo
	global_store_b128 v[4:5], v[0:3], off
.LBB0_23:
	s_endpgm
	.section	.rodata,"a",@progbits
	.p2align	6, 0x0
	.amdhsa_kernel bluestein_single_back_len1001_dim1_dp_op_CI_CI
		.amdhsa_group_segment_fixed_size 32032
		.amdhsa_private_segment_fixed_size 404
		.amdhsa_kernarg_size 104
		.amdhsa_user_sgpr_count 15
		.amdhsa_user_sgpr_dispatch_ptr 0
		.amdhsa_user_sgpr_queue_ptr 0
		.amdhsa_user_sgpr_kernarg_segment_ptr 1
		.amdhsa_user_sgpr_dispatch_id 0
		.amdhsa_user_sgpr_private_segment_size 0
		.amdhsa_wavefront_size32 1
		.amdhsa_uses_dynamic_stack 0
		.amdhsa_enable_private_segment 1
		.amdhsa_system_sgpr_workgroup_id_x 1
		.amdhsa_system_sgpr_workgroup_id_y 0
		.amdhsa_system_sgpr_workgroup_id_z 0
		.amdhsa_system_sgpr_workgroup_info 0
		.amdhsa_system_vgpr_workitem_id 0
		.amdhsa_next_free_vgpr 256
		.amdhsa_next_free_sgpr 48
		.amdhsa_reserve_vcc 1
		.amdhsa_float_round_mode_32 0
		.amdhsa_float_round_mode_16_64 0
		.amdhsa_float_denorm_mode_32 3
		.amdhsa_float_denorm_mode_16_64 3
		.amdhsa_dx10_clamp 1
		.amdhsa_ieee_mode 1
		.amdhsa_fp16_overflow 0
		.amdhsa_workgroup_processor_mode 1
		.amdhsa_memory_ordered 1
		.amdhsa_forward_progress 0
		.amdhsa_shared_vgpr_count 0
		.amdhsa_exception_fp_ieee_invalid_op 0
		.amdhsa_exception_fp_denorm_src 0
		.amdhsa_exception_fp_ieee_div_zero 0
		.amdhsa_exception_fp_ieee_overflow 0
		.amdhsa_exception_fp_ieee_underflow 0
		.amdhsa_exception_fp_ieee_inexact 0
		.amdhsa_exception_int_div_zero 0
	.end_amdhsa_kernel
	.text
.Lfunc_end0:
	.size	bluestein_single_back_len1001_dim1_dp_op_CI_CI, .Lfunc_end0-bluestein_single_back_len1001_dim1_dp_op_CI_CI
                                        ; -- End function
	.section	.AMDGPU.csdata,"",@progbits
; Kernel info:
; codeLenInByte = 25496
; NumSgprs: 50
; NumVgprs: 256
; ScratchSize: 404
; MemoryBound: 0
; FloatMode: 240
; IeeeMode: 1
; LDSByteSize: 32032 bytes/workgroup (compile time only)
; SGPRBlocks: 6
; VGPRBlocks: 31
; NumSGPRsForWavesPerEU: 50
; NumVGPRsForWavesPerEU: 256
; Occupancy: 5
; WaveLimiterHint : 1
; COMPUTE_PGM_RSRC2:SCRATCH_EN: 1
; COMPUTE_PGM_RSRC2:USER_SGPR: 15
; COMPUTE_PGM_RSRC2:TRAP_HANDLER: 0
; COMPUTE_PGM_RSRC2:TGID_X_EN: 1
; COMPUTE_PGM_RSRC2:TGID_Y_EN: 0
; COMPUTE_PGM_RSRC2:TGID_Z_EN: 0
; COMPUTE_PGM_RSRC2:TIDIG_COMP_CNT: 0
	.text
	.p2alignl 7, 3214868480
	.fill 96, 4, 3214868480
	.type	__hip_cuid_68b17a52ae1f2e8f,@object ; @__hip_cuid_68b17a52ae1f2e8f
	.section	.bss,"aw",@nobits
	.globl	__hip_cuid_68b17a52ae1f2e8f
__hip_cuid_68b17a52ae1f2e8f:
	.byte	0                               ; 0x0
	.size	__hip_cuid_68b17a52ae1f2e8f, 1

	.ident	"AMD clang version 19.0.0git (https://github.com/RadeonOpenCompute/llvm-project roc-6.4.0 25133 c7fe45cf4b819c5991fe208aaa96edf142730f1d)"
	.section	".note.GNU-stack","",@progbits
	.addrsig
	.addrsig_sym __hip_cuid_68b17a52ae1f2e8f
	.amdgpu_metadata
---
amdhsa.kernels:
  - .args:
      - .actual_access:  read_only
        .address_space:  global
        .offset:         0
        .size:           8
        .value_kind:     global_buffer
      - .actual_access:  read_only
        .address_space:  global
        .offset:         8
        .size:           8
        .value_kind:     global_buffer
      - .actual_access:  read_only
        .address_space:  global
        .offset:         16
        .size:           8
        .value_kind:     global_buffer
      - .actual_access:  read_only
        .address_space:  global
        .offset:         24
        .size:           8
        .value_kind:     global_buffer
      - .actual_access:  read_only
        .address_space:  global
        .offset:         32
        .size:           8
        .value_kind:     global_buffer
      - .offset:         40
        .size:           8
        .value_kind:     by_value
      - .address_space:  global
        .offset:         48
        .size:           8
        .value_kind:     global_buffer
      - .address_space:  global
        .offset:         56
        .size:           8
        .value_kind:     global_buffer
      - .address_space:  global
        .offset:         64
        .size:           8
        .value_kind:     global_buffer
      - .address_space:  global
        .offset:         72
        .size:           8
        .value_kind:     global_buffer
      - .offset:         80
        .size:           4
        .value_kind:     by_value
      - .address_space:  global
        .offset:         88
        .size:           8
        .value_kind:     global_buffer
      - .address_space:  global
        .offset:         96
        .size:           8
        .value_kind:     global_buffer
    .group_segment_fixed_size: 32032
    .kernarg_segment_align: 8
    .kernarg_segment_size: 104
    .language:       OpenCL C
    .language_version:
      - 2
      - 0
    .max_flat_workgroup_size: 182
    .name:           bluestein_single_back_len1001_dim1_dp_op_CI_CI
    .private_segment_fixed_size: 404
    .sgpr_count:     50
    .sgpr_spill_count: 0
    .symbol:         bluestein_single_back_len1001_dim1_dp_op_CI_CI.kd
    .uniform_work_group_size: 1
    .uses_dynamic_stack: false
    .vgpr_count:     256
    .vgpr_spill_count: 108
    .wavefront_size: 32
    .workgroup_processor_mode: 1
amdhsa.target:   amdgcn-amd-amdhsa--gfx1100
amdhsa.version:
  - 1
  - 2
...

	.end_amdgpu_metadata
